;; amdgpu-corpus repo=LLNL/RAJAPerf kind=compiled arch=gfx90a opt=O3
	.text
	.amdgcn_target "amdgcn-amd-amdhsa--gfx90a"
	.amdhsa_code_object_version 6
	.section	.text._ZN8rajaperf4apps8Mass3DEAILm64EEEvPdS2_S2_,"axG",@progbits,_ZN8rajaperf4apps8Mass3DEAILm64EEEvPdS2_S2_,comdat
	.protected	_ZN8rajaperf4apps8Mass3DEAILm64EEEvPdS2_S2_ ; -- Begin function _ZN8rajaperf4apps8Mass3DEAILm64EEEvPdS2_S2_
	.globl	_ZN8rajaperf4apps8Mass3DEAILm64EEEvPdS2_S2_
	.p2align	8
	.type	_ZN8rajaperf4apps8Mass3DEAILm64EEEvPdS2_S2_,@function
_ZN8rajaperf4apps8Mass3DEAILm64EEEvPdS2_S2_: ; @_ZN8rajaperf4apps8Mass3DEAILm64EEEvPdS2_S2_
; %bb.0:
	s_load_dwordx4 s[8:11], s[4:5], 0x0
	s_load_dwordx2 s[12:13], s[4:5], 0x10
	v_bfe_u32 v80, v0, 20, 10
	v_and_b32_e32 v16, 0x3ff, v0
	v_cmp_eq_u32_e64 s[0:1], 0, v80
	v_cmp_gt_u32_e32 vcc, 4, v16
	s_mov_b32 s7, 0
	s_and_b64 s[2:3], s[0:1], vcc
	v_bfe_u32 v8, v0, 10, 10
	s_and_saveexec_b64 s[4:5], s[2:3]
	s_cbranch_execz .LBB0_4
; %bb.1:
	v_cmp_gt_u32_e64 s[2:3], 5, v8
	s_and_saveexec_b64 s[14:15], s[2:3]
	s_xor_b64 s[14:15], exec, s[14:15]
	s_cbranch_execz .LBB0_4
; %bb.2:
	v_mul_u32_u24_e32 v0, 40, v16
	s_waitcnt lgkmcnt(0)
	v_mov_b32_e32 v1, s9
	v_add_co_u32_e64 v0, s[2:3], s8, v0
	v_addc_co_u32_e64 v1, s[2:3], 0, v1, s[2:3]
	v_lshlrev_b32_e32 v2, 3, v8
	v_add_co_u32_e64 v2, s[2:3], v0, v2
	v_addc_co_u32_e64 v3, s[2:3], 0, v1, s[2:3]
	global_load_dwordx2 v[4:5], v[2:3], off
	v_lshlrev_b32_e32 v2, 3, v16
	v_lshl_add_u32 v3, v8, 5, v2
	v_cmp_eq_u32_e64 s[2:3], 0, v8
	s_waitcnt vmcnt(0)
	ds_write_b64 v3, v[4:5] offset:1008
	s_and_saveexec_b64 s[8:9], s[2:3]
	s_xor_b64 s[8:9], exec, s[8:9]
	s_cbranch_execz .LBB0_4
; %bb.3:
	global_load_dwordx2 v[0:1], v[0:1], off offset:32
	s_waitcnt vmcnt(0)
	ds_write_b64 v2, v[0:1] offset:1136
.LBB0_4:
	s_or_b64 exec, exec, s[4:5]
	v_mov_b32_e32 v17, 0
	v_cmp_gt_u32_e64 s[2:3], 5, v16
	s_and_saveexec_b64 s[14:15], s[2:3]
	s_cbranch_execz .LBB0_13
; %bb.5:
	s_waitcnt lgkmcnt(0)
	s_mul_i32 s9, s6, 0x3e8
	s_mul_hi_u32 s8, s6, 0x3e8
	s_add_u32 s22, s10, s9
	v_mov_b32_e32 v9, v17
	v_cmp_gt_u32_e64 s[2:3], 5, v8
	v_cmp_gt_u32_e64 s[4:5], 5, v80
	s_addc_u32 s23, s11, s8
	s_movk_i32 s24, 0xc8
	v_mul_u32_u24_e32 v0, 0xc8, v80
	s_mov_b64 s[10:11], 0
	v_lshlrev_b32_e32 v1, 3, v80
	v_pk_mov_b32 v[2:3], v[16:17], v[16:17] op_sel:[0,1]
	s_branch .LBB0_7
.LBB0_6:                                ;   in Loop: Header=BB0_7 Depth=1
	s_or_b64 exec, exec, s[16:17]
	v_cmp_ne_u64_e64 s[8:9], 0, v[2:3]
	v_mov_b32_e32 v2, 4
	s_or_b64 s[10:11], s[8:9], s[10:11]
	v_mov_b32_e32 v3, 0
	s_andn2_b64 exec, exec, s[10:11]
	s_cbranch_execz .LBB0_13
.LBB0_7:                                ; =>This Loop Header: Depth=1
                                        ;     Child Loop BB0_10 Depth 2
	s_and_saveexec_b64 s[16:17], s[2:3]
	s_cbranch_execz .LBB0_6
; %bb.8:                                ;   in Loop: Header=BB0_7 Depth=1
	v_lshlrev_b64 v[4:5], 3, v[2:3]
	v_mov_b32_e32 v6, s23
	v_add_co_u32_e64 v11, s[8:9], s22, v4
	v_addc_co_u32_e64 v12, s[8:9], v6, v5, s[8:9]
	s_mov_b64 s[18:19], 0
	v_mul_lo_u32 v13, v2, s24
	v_pk_mov_b32 v[4:5], v[8:9], v[8:9] op_sel:[0,1]
	s_branch .LBB0_10
.LBB0_9:                                ;   in Loop: Header=BB0_10 Depth=2
	s_or_b64 exec, exec, s[20:21]
	v_cmp_ne_u64_e64 s[8:9], 0, v[4:5]
	v_mov_b32_e32 v4, 4
	s_or_b64 s[18:19], s[8:9], s[18:19]
	v_mov_b32_e32 v5, 0
	s_andn2_b64 exec, exec, s[18:19]
	s_cbranch_execz .LBB0_6
.LBB0_10:                               ;   Parent Loop BB0_7 Depth=1
                                        ; =>  This Inner Loop Header: Depth=2
	s_and_saveexec_b64 s[20:21], s[4:5]
	s_cbranch_execz .LBB0_9
; %bb.11:                               ;   in Loop: Header=BB0_10 Depth=2
	v_mul_i32_i24_e32 v6, 40, v4
	v_mul_hi_i32_i24_e32 v7, 40, v4
	v_add_co_u32_e64 v6, s[8:9], v11, v6
	v_addc_co_u32_e64 v7, s[8:9], v12, v7, s[8:9]
	v_add_co_u32_e64 v14, s[8:9], v6, v0
	v_addc_co_u32_e64 v15, s[8:9], 0, v7, s[8:9]
	global_load_dwordx2 v[14:15], v[14:15], off
	v_mul_lo_u32 v10, v4, 40
	v_add3_u32 v17, v13, v10, v1
	s_waitcnt vmcnt(0)
	ds_write_b64 v17, v[14:15]
	s_and_b64 exec, exec, s[0:1]
	s_cbranch_execz .LBB0_9
; %bb.12:                               ;   in Loop: Header=BB0_10 Depth=2
	global_load_dwordx2 v[6:7], v[6:7], off offset:800
	v_mad_u64_u32 v[14:15], s[8:9], v2, s24, v[10:11]
	s_waitcnt vmcnt(0)
	ds_write_b64 v14, v[6:7] offset:32
	s_branch .LBB0_9
.LBB0_13:
	s_or_b64 exec, exec, s[14:15]
	s_waitcnt lgkmcnt(0)
	; wave barrier
	s_waitcnt lgkmcnt(0)
	s_and_saveexec_b64 s[0:1], vcc
	s_cbranch_execz .LBB0_23
; %bb.14:
	v_or_b32_e32 v0, v8, v80
	v_cmp_gt_u32_e32 vcc, 4, v0
	s_and_b64 exec, exec, vcc
	s_cbranch_execz .LBB0_23
; %bb.15:
	v_mov_b32_e32 v60, 0
	v_lshlrev_b32_e32 v17, 3, v80
	v_lshlrev_b32_e32 v18, 3, v8
	v_lshlrev_b32_e32 v82, 2, v8
	ds_read2_b64 v[0:3], v17 offset0:134 offset1:138
	ds_read2_b64 v[4:7], v17 offset0:126 offset1:130
	;; [unrolled: 1-line block ×4, first 2 shown]
	v_lshlrev_b32_e32 v64, 3, v16
	ds_read_b64 v[84:85], v17 offset:1136
	ds_read_b64 v[86:87], v18 offset:1136
	;; [unrolled: 1-line block ×3, first 2 shown]
	ds_read_b128 v[16:19], v60
	ds_read_b128 v[20:23], v60 offset:16
	ds_read_b128 v[24:27], v60 offset:32
	;; [unrolled: 1-line block ×5, first 2 shown]
	ds_read_b64 v[90:91], v60 offset:192
	ds_read_b128 v[40:43], v60 offset:96
	ds_read_b128 v[44:47], v60 offset:112
	;; [unrolled: 1-line block ×6, first 2 shown]
	v_mov_b32_e32 v65, s13
	v_add_co_u32_e32 v81, vcc, s12, v64
	s_lshl_b64 s[0:1], s[6:7], 4
	v_addc_co_u32_e32 v83, vcc, 0, v65, vcc
	s_movk_i32 s12, 0x410
	v_add_u32_e32 v158, 0x410, v64
	s_mov_b64 s[2:3], 0
.LBB0_16:                               ; =>This Loop Header: Depth=1
                                        ;     Child Loop BB0_17 Depth 2
                                        ;       Child Loop BB0_18 Depth 3
                                        ;         Child Loop BB0_19 Depth 4
	s_lshl_b32 s4, s2, 3
	v_mov_b32_e32 v64, s4
	ds_read_b64 v[64:65], v64 offset:1008
	s_lshl_b64 s[4:5], s[2:3], 2
	s_mov_b64 s[6:7], 0
	s_waitcnt lgkmcnt(0)
	v_mul_f64 v[64:65], v[88:89], v[64:65]
	v_mul_f64 v[92:93], v[64:65], v[8:9]
	;; [unrolled: 1-line block ×6, first 2 shown]
.LBB0_17:                               ;   Parent Loop BB0_16 Depth=1
                                        ; =>  This Loop Header: Depth=2
                                        ;       Child Loop BB0_18 Depth 3
                                        ;         Child Loop BB0_19 Depth 4
	s_lshl_b32 s8, s6, 3
	v_mov_b32_e32 v72, s8
	ds_read2_b64 v[64:67], v72 offset0:126 offset1:130
	ds_read2_b64 v[68:71], v72 offset0:134 offset1:138
	ds_read_b64 v[102:103], v72 offset:1136
	s_mov_b64 s[8:9], 0
	s_waitcnt lgkmcnt(2)
	v_mul_f64 v[72:73], v[92:93], v[64:65]
	s_waitcnt lgkmcnt(1)
	v_mul_f64 v[76:77], v[96:97], v[68:69]
	v_mul_f64 v[112:113], v[76:77], v[4:5]
	;; [unrolled: 1-line block ×13, first 2 shown]
	s_waitcnt lgkmcnt(0)
	v_mul_f64 v[76:77], v[100:101], v[102:103]
	v_mul_f64 v[104:105], v[72:73], v[4:5]
	v_mul_f64 v[106:107], v[72:73], v[6:7]
	v_mul_f64 v[108:109], v[74:75], v[4:5]
	v_mul_f64 v[110:111], v[74:75], v[6:7]
	v_mul_f64 v[132:133], v[76:77], v[4:5]
	v_mul_f64 v[134:135], v[76:77], v[6:7]
	v_mul_f64 v[136:137], v[76:77], v[0:1]
	v_mul_f64 v[138:139], v[76:77], v[2:3]
	v_mul_f64 v[140:141], v[76:77], v[84:85]
	v_mul_f64 v[142:143], v[72:73], v[0:1]
	v_mul_f64 v[144:145], v[72:73], v[2:3]
	v_mul_f64 v[146:147], v[72:73], v[84:85]
	v_mul_f64 v[148:149], v[74:75], v[0:1]
	v_mul_f64 v[150:151], v[74:75], v[2:3]
	v_mul_f64 v[152:153], v[74:75], v[84:85]
.LBB0_18:                               ;   Parent Loop BB0_16 Depth=1
                                        ;     Parent Loop BB0_17 Depth=2
                                        ; =>    This Loop Header: Depth=3
                                        ;         Child Loop BB0_19 Depth 4
	s_lshl_b32 s10, s8, 3
	v_mov_b32_e32 v154, s10
	ds_read2_b64 v[72:75], v154 offset0:126 offset1:130
	ds_read2_b64 v[76:79], v154 offset0:134 offset1:138
	ds_read_b64 v[156:157], v154 offset:1136
	s_mov_b64 s[10:11], 4
	s_movk_i32 s13, 0xc8
	s_waitcnt lgkmcnt(2)
	v_mul_f64 v[154:155], v[104:105], v[72:73]
	v_mul_f64 v[160:161], v[106:107], v[74:75]
	v_fma_f64 v[154:155], v[154:155], v[16:17], 0
	s_waitcnt lgkmcnt(1)
	v_mul_f64 v[162:163], v[142:143], v[76:77]
	v_fmac_f64_e32 v[154:155], v[160:161], v[18:19]
	v_fmac_f64_e32 v[154:155], v[162:163], v[20:21]
	v_mul_f64 v[160:161], v[144:145], v[78:79]
	v_fmac_f64_e32 v[154:155], v[160:161], v[22:23]
	s_waitcnt lgkmcnt(0)
	v_mul_f64 v[160:161], v[146:147], v[156:157]
	v_fmac_f64_e32 v[154:155], v[160:161], v[24:25]
	v_mul_f64 v[160:161], v[108:109], v[72:73]
	v_fmac_f64_e32 v[154:155], v[160:161], v[26:27]
	v_mul_f64 v[160:161], v[110:111], v[74:75]
	v_fmac_f64_e32 v[154:155], v[160:161], v[28:29]
	v_mul_f64 v[160:161], v[148:149], v[76:77]
	v_fmac_f64_e32 v[154:155], v[160:161], v[30:31]
	v_mul_f64 v[160:161], v[150:151], v[78:79]
	v_fmac_f64_e32 v[154:155], v[160:161], v[32:33]
	v_mul_f64 v[160:161], v[152:153], v[156:157]
	v_fmac_f64_e32 v[154:155], v[160:161], v[34:35]
	v_mul_f64 v[160:161], v[112:113], v[72:73]
	v_fmac_f64_e32 v[154:155], v[160:161], v[36:37]
	v_mul_f64 v[160:161], v[114:115], v[74:75]
	v_fmac_f64_e32 v[154:155], v[160:161], v[38:39]
	v_mul_f64 v[160:161], v[116:117], v[76:77]
	v_fmac_f64_e32 v[154:155], v[160:161], v[40:41]
	v_mul_f64 v[160:161], v[118:119], v[78:79]
	v_fmac_f64_e32 v[154:155], v[160:161], v[42:43]
	v_mul_f64 v[160:161], v[120:121], v[156:157]
	v_fmac_f64_e32 v[154:155], v[160:161], v[44:45]
	v_mul_f64 v[160:161], v[122:123], v[72:73]
	v_fmac_f64_e32 v[154:155], v[160:161], v[46:47]
	v_mul_f64 v[160:161], v[124:125], v[74:75]
	v_fmac_f64_e32 v[154:155], v[160:161], v[48:49]
	v_mul_f64 v[160:161], v[126:127], v[76:77]
	v_fmac_f64_e32 v[154:155], v[160:161], v[50:51]
	v_mul_f64 v[160:161], v[128:129], v[78:79]
	v_fmac_f64_e32 v[154:155], v[160:161], v[52:53]
	v_mul_f64 v[160:161], v[130:131], v[156:157]
	v_fmac_f64_e32 v[154:155], v[160:161], v[54:55]
	v_mul_f64 v[160:161], v[132:133], v[72:73]
	v_fmac_f64_e32 v[154:155], v[160:161], v[56:57]
	v_mul_f64 v[160:161], v[134:135], v[74:75]
	v_fmac_f64_e32 v[154:155], v[160:161], v[58:59]
	v_mul_f64 v[160:161], v[136:137], v[76:77]
	v_fmac_f64_e32 v[154:155], v[160:161], v[60:61]
	v_mul_f64 v[160:161], v[138:139], v[78:79]
	v_fmac_f64_e32 v[154:155], v[160:161], v[62:63]
	v_mul_f64 v[160:161], v[140:141], v[156:157]
	v_fmac_f64_e32 v[154:155], v[160:161], v[90:91]
	v_mov_b32_e32 v159, v158
	s_mov_b32 s14, s12
.LBB0_19:                               ;   Parent Loop BB0_16 Depth=1
                                        ;     Parent Loop BB0_17 Depth=2
                                        ;       Parent Loop BB0_18 Depth=3
                                        ; =>      This Inner Loop Header: Depth=4
	v_mov_b32_e32 v162, s14
	ds_read_b64 v[160:161], v159
	ds_read_b64 v[162:163], v162
	v_mov_b32_e32 v170, s13
	s_add_u32 s10, s10, -1
	s_addc_u32 s11, s11, -1
	s_addk_i32 s13, 0xc8
	s_waitcnt lgkmcnt(0)
	v_mul_f64 v[164:165], v[160:161], v[162:163]
	v_mul_f64 v[160:161], v[164:165], v[8:9]
	;; [unrolled: 1-line block ×5, first 2 shown]
	ds_read2_b64 v[160:163], v170 offset1:1
	s_add_i32 s14, s14, 32
	v_add_u32_e32 v159, 32, v159
	s_cmp_lg_u64 s[10:11], 0
	s_waitcnt lgkmcnt(0)
	v_fmac_f64_e32 v[154:155], v[168:169], v[160:161]
	v_mul_f64 v[160:161], v[166:167], v[6:7]
	v_mul_f64 v[160:161], v[160:161], v[74:75]
	v_fmac_f64_e32 v[154:155], v[160:161], v[162:163]
	v_mul_f64 v[160:161], v[166:167], v[0:1]
	v_mul_f64 v[168:169], v[160:161], v[76:77]
	ds_read2_b64 v[160:163], v170 offset0:2 offset1:3
	s_waitcnt lgkmcnt(0)
	v_fmac_f64_e32 v[154:155], v[168:169], v[160:161]
	v_mul_f64 v[160:161], v[166:167], v[2:3]
	v_mul_f64 v[160:161], v[160:161], v[78:79]
	v_fmac_f64_e32 v[154:155], v[160:161], v[162:163]
	v_mul_f64 v[160:161], v[166:167], v[84:85]
	v_mul_f64 v[166:167], v[160:161], v[156:157]
	ds_read2_b64 v[160:163], v170 offset0:4 offset1:5
	s_waitcnt lgkmcnt(0)
	v_fmac_f64_e32 v[154:155], v[166:167], v[160:161]
	v_mul_f64 v[160:161], v[164:165], v[10:11]
	v_mul_f64 v[166:167], v[160:161], v[66:67]
	;; [unrolled: 1-line block ×4, first 2 shown]
	v_fmac_f64_e32 v[154:155], v[160:161], v[162:163]
	v_mul_f64 v[160:161], v[166:167], v[6:7]
	v_mul_f64 v[168:169], v[160:161], v[74:75]
	ds_read2_b64 v[160:163], v170 offset0:6 offset1:7
	s_waitcnt lgkmcnt(0)
	v_fmac_f64_e32 v[154:155], v[168:169], v[160:161]
	v_mul_f64 v[160:161], v[166:167], v[0:1]
	v_mul_f64 v[160:161], v[160:161], v[76:77]
	v_fmac_f64_e32 v[154:155], v[160:161], v[162:163]
	v_mul_f64 v[160:161], v[166:167], v[2:3]
	v_mul_f64 v[168:169], v[160:161], v[78:79]
	ds_read2_b64 v[160:163], v170 offset0:8 offset1:9
	s_waitcnt lgkmcnt(0)
	v_fmac_f64_e32 v[154:155], v[168:169], v[160:161]
	v_mul_f64 v[160:161], v[166:167], v[84:85]
	v_mul_f64 v[160:161], v[160:161], v[156:157]
	v_fmac_f64_e32 v[154:155], v[160:161], v[162:163]
	v_mul_f64 v[160:161], v[164:165], v[12:13]
	v_mul_f64 v[166:167], v[160:161], v[68:69]
	;; [unrolled: 1-line block ×4, first 2 shown]
	ds_read2_b64 v[160:163], v170 offset0:10 offset1:11
	s_waitcnt lgkmcnt(0)
	v_fmac_f64_e32 v[154:155], v[168:169], v[160:161]
	v_mul_f64 v[160:161], v[166:167], v[6:7]
	v_mul_f64 v[160:161], v[160:161], v[74:75]
	v_fmac_f64_e32 v[154:155], v[160:161], v[162:163]
	v_mul_f64 v[160:161], v[166:167], v[0:1]
	v_mul_f64 v[168:169], v[160:161], v[76:77]
	ds_read2_b64 v[160:163], v170 offset0:12 offset1:13
	s_waitcnt lgkmcnt(0)
	v_fmac_f64_e32 v[154:155], v[168:169], v[160:161]
	v_mul_f64 v[160:161], v[166:167], v[2:3]
	v_mul_f64 v[160:161], v[160:161], v[78:79]
	v_fmac_f64_e32 v[154:155], v[160:161], v[162:163]
	v_mul_f64 v[160:161], v[166:167], v[84:85]
	v_mul_f64 v[166:167], v[160:161], v[156:157]
	ds_read2_b64 v[160:163], v170 offset0:14 offset1:15
	s_waitcnt lgkmcnt(0)
	v_fmac_f64_e32 v[154:155], v[166:167], v[160:161]
	v_mul_f64 v[160:161], v[164:165], v[14:15]
	v_mul_f64 v[166:167], v[160:161], v[70:71]
	v_mul_f64 v[160:161], v[166:167], v[4:5]
	v_mul_f64 v[160:161], v[160:161], v[72:73]
	v_fmac_f64_e32 v[154:155], v[160:161], v[162:163]
	v_mul_f64 v[160:161], v[166:167], v[6:7]
	v_mul_f64 v[168:169], v[160:161], v[74:75]
	ds_read2_b64 v[160:163], v170 offset0:16 offset1:17
	s_waitcnt lgkmcnt(0)
	v_fmac_f64_e32 v[154:155], v[168:169], v[160:161]
	v_mul_f64 v[160:161], v[166:167], v[0:1]
	v_mul_f64 v[160:161], v[160:161], v[76:77]
	v_fmac_f64_e32 v[154:155], v[160:161], v[162:163]
	v_mul_f64 v[160:161], v[166:167], v[2:3]
	v_mul_f64 v[168:169], v[160:161], v[78:79]
	ds_read2_b64 v[160:163], v170 offset0:18 offset1:19
	s_waitcnt lgkmcnt(0)
	v_fmac_f64_e32 v[154:155], v[168:169], v[160:161]
	v_mul_f64 v[160:161], v[166:167], v[84:85]
	v_mul_f64 v[160:161], v[160:161], v[156:157]
	v_fmac_f64_e32 v[154:155], v[160:161], v[162:163]
	v_mul_f64 v[160:161], v[164:165], v[86:87]
	v_mul_f64 v[164:165], v[160:161], v[102:103]
	;; [unrolled: 1-line block ×4, first 2 shown]
	ds_read2_b64 v[160:163], v170 offset0:20 offset1:21
	s_waitcnt lgkmcnt(0)
	v_fmac_f64_e32 v[154:155], v[166:167], v[160:161]
	v_mul_f64 v[160:161], v[164:165], v[6:7]
	v_mul_f64 v[160:161], v[160:161], v[74:75]
	v_fmac_f64_e32 v[154:155], v[160:161], v[162:163]
	v_mul_f64 v[160:161], v[164:165], v[0:1]
	v_mul_f64 v[166:167], v[160:161], v[76:77]
	ds_read2_b64 v[160:163], v170 offset0:22 offset1:23
	s_waitcnt lgkmcnt(0)
	v_fmac_f64_e32 v[154:155], v[166:167], v[160:161]
	v_mul_f64 v[160:161], v[164:165], v[2:3]
	v_mul_f64 v[160:161], v[160:161], v[78:79]
	v_fmac_f64_e32 v[154:155], v[160:161], v[162:163]
	ds_read_b64 v[162:163], v170 offset:192
	v_mul_f64 v[160:161], v[164:165], v[84:85]
	v_mul_f64 v[160:161], v[160:161], v[156:157]
	s_waitcnt lgkmcnt(0)
	v_fmac_f64_e32 v[154:155], v[160:161], v[162:163]
	s_cbranch_scc1 .LBB0_19
; %bb.20:                               ;   in Loop: Header=BB0_18 Depth=3
	s_lshl_b64 s[10:11], s[8:9], 2
	s_add_u32 s10, s10, s0
	s_addc_u32 s11, s11, s1
	s_add_u32 s10, s10, s6
	s_addc_u32 s11, s11, s7
	s_lshl_b64 s[10:11], s[10:11], 4
	s_add_u32 s10, s10, s4
	s_addc_u32 s11, s11, s5
	v_or_b32_e64 v73, s11, 0
	v_or_b32_e32 v72, s10, v80
	v_lshlrev_b64 v[72:73], 7, v[72:73]
	v_lshl_or_b32 v72, v82, 3, v72
	s_add_u32 s8, s8, 1
	v_add_co_u32_e32 v72, vcc, v81, v72
	s_addc_u32 s9, s9, 0
	v_addc_co_u32_e32 v73, vcc, v83, v73, vcc
	s_cmp_eq_u64 s[8:9], 4
	global_store_dwordx2 v[72:73], v[154:155], off
	s_cbranch_scc0 .LBB0_18
; %bb.21:                               ;   in Loop: Header=BB0_17 Depth=2
	s_add_u32 s6, s6, 1
	s_addc_u32 s7, s7, 0
	s_cmp_eq_u64 s[6:7], 4
	s_cbranch_scc0 .LBB0_17
; %bb.22:                               ;   in Loop: Header=BB0_16 Depth=1
	s_add_u32 s2, s2, 1
	s_addc_u32 s3, s3, 0
	s_add_i32 s12, s12, 8
	s_cmp_eq_u64 s[2:3], 4
	s_cbranch_scc0 .LBB0_16
.LBB0_23:
	s_endpgm
	.section	.rodata,"a",@progbits
	.p2align	6, 0x0
	.amdhsa_kernel _ZN8rajaperf4apps8Mass3DEAILm64EEEvPdS2_S2_
		.amdhsa_group_segment_fixed_size 1168
		.amdhsa_private_segment_fixed_size 0
		.amdhsa_kernarg_size 24
		.amdhsa_user_sgpr_count 6
		.amdhsa_user_sgpr_private_segment_buffer 1
		.amdhsa_user_sgpr_dispatch_ptr 0
		.amdhsa_user_sgpr_queue_ptr 0
		.amdhsa_user_sgpr_kernarg_segment_ptr 1
		.amdhsa_user_sgpr_dispatch_id 0
		.amdhsa_user_sgpr_flat_scratch_init 0
		.amdhsa_user_sgpr_kernarg_preload_length 0
		.amdhsa_user_sgpr_kernarg_preload_offset 0
		.amdhsa_user_sgpr_private_segment_size 0
		.amdhsa_uses_dynamic_stack 0
		.amdhsa_system_sgpr_private_segment_wavefront_offset 0
		.amdhsa_system_sgpr_workgroup_id_x 1
		.amdhsa_system_sgpr_workgroup_id_y 0
		.amdhsa_system_sgpr_workgroup_id_z 0
		.amdhsa_system_sgpr_workgroup_info 0
		.amdhsa_system_vgpr_workitem_id 2
		.amdhsa_next_free_vgpr 171
		.amdhsa_next_free_sgpr 25
		.amdhsa_accum_offset 172
		.amdhsa_reserve_vcc 1
		.amdhsa_reserve_flat_scratch 0
		.amdhsa_float_round_mode_32 0
		.amdhsa_float_round_mode_16_64 0
		.amdhsa_float_denorm_mode_32 3
		.amdhsa_float_denorm_mode_16_64 3
		.amdhsa_dx10_clamp 1
		.amdhsa_ieee_mode 1
		.amdhsa_fp16_overflow 0
		.amdhsa_tg_split 0
		.amdhsa_exception_fp_ieee_invalid_op 0
		.amdhsa_exception_fp_denorm_src 0
		.amdhsa_exception_fp_ieee_div_zero 0
		.amdhsa_exception_fp_ieee_overflow 0
		.amdhsa_exception_fp_ieee_underflow 0
		.amdhsa_exception_fp_ieee_inexact 0
		.amdhsa_exception_int_div_zero 0
	.end_amdhsa_kernel
	.section	.text._ZN8rajaperf4apps8Mass3DEAILm64EEEvPdS2_S2_,"axG",@progbits,_ZN8rajaperf4apps8Mass3DEAILm64EEEvPdS2_S2_,comdat
.Lfunc_end0:
	.size	_ZN8rajaperf4apps8Mass3DEAILm64EEEvPdS2_S2_, .Lfunc_end0-_ZN8rajaperf4apps8Mass3DEAILm64EEEvPdS2_S2_
                                        ; -- End function
	.section	.AMDGPU.csdata,"",@progbits
; Kernel info:
; codeLenInByte = 2468
; NumSgprs: 29
; NumVgprs: 171
; NumAgprs: 0
; TotalNumVgprs: 171
; ScratchSize: 0
; MemoryBound: 0
; FloatMode: 240
; IeeeMode: 1
; LDSByteSize: 1168 bytes/workgroup (compile time only)
; SGPRBlocks: 3
; VGPRBlocks: 21
; NumSGPRsForWavesPerEU: 29
; NumVGPRsForWavesPerEU: 171
; AccumOffset: 172
; Occupancy: 2
; WaveLimiterHint : 0
; COMPUTE_PGM_RSRC2:SCRATCH_EN: 0
; COMPUTE_PGM_RSRC2:USER_SGPR: 6
; COMPUTE_PGM_RSRC2:TRAP_HANDLER: 0
; COMPUTE_PGM_RSRC2:TGID_X_EN: 1
; COMPUTE_PGM_RSRC2:TGID_Y_EN: 0
; COMPUTE_PGM_RSRC2:TGID_Z_EN: 0
; COMPUTE_PGM_RSRC2:TIDIG_COMP_CNT: 2
; COMPUTE_PGM_RSRC3_GFX90A:ACCUM_OFFSET: 42
; COMPUTE_PGM_RSRC3_GFX90A:TG_SPLIT: 0
	.section	.text._ZN4RAJA34launch_new_reduce_global_fcn_fixedIZN8rajaperf4apps8MASS3DEA17runHipVariantImplILm64ELm0EEEvNS1_9VariantIDEEUlNS_14LaunchContextTINS_3hip33LaunchContextIndicesAndDimsPolicyINS7_14IndicesAndDimsILb0ELb0ELb0ELb0EEEEEEEE_Li64ENS_4expt15ForallParamPackIJEEEEEvT_T1_,"axG",@progbits,_ZN4RAJA34launch_new_reduce_global_fcn_fixedIZN8rajaperf4apps8MASS3DEA17runHipVariantImplILm64ELm0EEEvNS1_9VariantIDEEUlNS_14LaunchContextTINS_3hip33LaunchContextIndicesAndDimsPolicyINS7_14IndicesAndDimsILb0ELb0ELb0ELb0EEEEEEEE_Li64ENS_4expt15ForallParamPackIJEEEEEvT_T1_,comdat
	.protected	_ZN4RAJA34launch_new_reduce_global_fcn_fixedIZN8rajaperf4apps8MASS3DEA17runHipVariantImplILm64ELm0EEEvNS1_9VariantIDEEUlNS_14LaunchContextTINS_3hip33LaunchContextIndicesAndDimsPolicyINS7_14IndicesAndDimsILb0ELb0ELb0ELb0EEEEEEEE_Li64ENS_4expt15ForallParamPackIJEEEEEvT_T1_ ; -- Begin function _ZN4RAJA34launch_new_reduce_global_fcn_fixedIZN8rajaperf4apps8MASS3DEA17runHipVariantImplILm64ELm0EEEvNS1_9VariantIDEEUlNS_14LaunchContextTINS_3hip33LaunchContextIndicesAndDimsPolicyINS7_14IndicesAndDimsILb0ELb0ELb0ELb0EEEEEEEE_Li64ENS_4expt15ForallParamPackIJEEEEEvT_T1_
	.globl	_ZN4RAJA34launch_new_reduce_global_fcn_fixedIZN8rajaperf4apps8MASS3DEA17runHipVariantImplILm64ELm0EEEvNS1_9VariantIDEEUlNS_14LaunchContextTINS_3hip33LaunchContextIndicesAndDimsPolicyINS7_14IndicesAndDimsILb0ELb0ELb0ELb0EEEEEEEE_Li64ENS_4expt15ForallParamPackIJEEEEEvT_T1_
	.p2align	8
	.type	_ZN4RAJA34launch_new_reduce_global_fcn_fixedIZN8rajaperf4apps8MASS3DEA17runHipVariantImplILm64ELm0EEEvNS1_9VariantIDEEUlNS_14LaunchContextTINS_3hip33LaunchContextIndicesAndDimsPolicyINS7_14IndicesAndDimsILb0ELb0ELb0ELb0EEEEEEEE_Li64ENS_4expt15ForallParamPackIJEEEEEvT_T1_,@function
_ZN4RAJA34launch_new_reduce_global_fcn_fixedIZN8rajaperf4apps8MASS3DEA17runHipVariantImplILm64ELm0EEEvNS1_9VariantIDEEUlNS_14LaunchContextTINS_3hip33LaunchContextIndicesAndDimsPolicyINS7_14IndicesAndDimsILb0ELb0ELb0ELb0EEEEEEEE_Li64ENS_4expt15ForallParamPackIJEEEEEvT_T1_: ; @_ZN4RAJA34launch_new_reduce_global_fcn_fixedIZN8rajaperf4apps8MASS3DEA17runHipVariantImplILm64ELm0EEEvNS1_9VariantIDEEUlNS_14LaunchContextTINS_3hip33LaunchContextIndicesAndDimsPolicyINS7_14IndicesAndDimsILb0ELb0ELb0ELb0EEEEEEEE_Li64ENS_4expt15ForallParamPackIJEEEEEvT_T1_
; %bb.0:
	s_load_dwordx8 s[8:15], s[4:5], 0x0
	s_mov_b64 s[22:23], s[2:3]
	s_mov_b64 s[20:21], s[0:1]
	s_add_u32 s20, s20, s7
	s_mov_b32 s7, 0
	v_pk_mov_b32 v[2:3], s[6:7], s[6:7] op_sel:[0,1]
	s_waitcnt lgkmcnt(0)
	v_cmp_le_i64_e32 vcc, s[8:9], v[2:3]
	s_addc_u32 s21, s21, 0
	s_cbranch_vccnz .LBB1_25
; %bb.1:
	v_bfe_u32 v5, v0, 20, 10
	v_cmp_eq_u32_e32 vcc, 0, v5
	v_and_b32_e32 v6, 0x3ff, v0
	v_bfe_u32 v4, v0, 10, 10
	s_and_saveexec_b64 s[4:5], vcc
	s_cbranch_execz .LBB1_5
; %bb.2:
	v_cmp_gt_u32_e64 s[0:1], 4, v6
	v_cmp_gt_u32_e64 s[2:3], 5, v4
	s_and_b64 s[0:1], s[0:1], s[2:3]
	s_and_b64 exec, exec, s[0:1]
	s_cbranch_execz .LBB1_5
; %bb.3:
	v_mul_u32_u24_e32 v0, 40, v6
	v_mov_b32_e32 v1, s11
	v_add_co_u32_e64 v0, s[0:1], s10, v0
	v_addc_co_u32_e64 v1, s[0:1], 0, v1, s[0:1]
	v_lshlrev_b32_e32 v2, 3, v4
	v_add_co_u32_e64 v2, s[0:1], v0, v2
	v_addc_co_u32_e64 v3, s[0:1], 0, v1, s[0:1]
	global_load_dwordx2 v[8:9], v[2:3], off
	v_lshlrev_b32_e32 v2, 3, v6
	v_lshl_add_u32 v3, v4, 5, v2
	v_cmp_eq_u32_e64 s[0:1], 0, v4
	s_waitcnt vmcnt(0)
	ds_write_b64 v3, v[8:9] offset:1008
	s_and_b64 exec, exec, s[0:1]
	s_cbranch_execz .LBB1_5
; %bb.4:
	global_load_dwordx2 v[0:1], v[0:1], off offset:32
	s_waitcnt vmcnt(0)
	ds_write_b64 v2, v[0:1] offset:1136
.LBB1_5:
	s_or_b64 exec, exec, s[4:5]
	v_cmp_gt_u32_e64 s[0:1], 5, v6
	s_and_saveexec_b64 s[10:11], s[0:1]
	s_cbranch_execz .LBB1_20
; %bb.6:
	v_cmp_gt_u32_e64 s[0:1], 5, v5
	v_cmp_eq_u32_e64 s[8:9], 0, v4
	s_and_b64 s[16:17], s[8:9], s[0:1]
	s_mul_i32 s9, s6, 0x3e8
	s_mul_hi_u32 s8, s6, 0x3e8
	s_add_u32 s18, s12, s9
	v_mul_u32_u24_e32 v8, 40, v4
	s_addc_u32 s19, s13, s8
	v_mov_b32_e32 v1, s19
	v_add_co_u32_e64 v0, s[8:9], s18, v8
	v_cmp_lt_u32_e64 s[2:3], 4, v4
	v_cmp_gt_u32_e64 s[4:5], 5, v4
	v_mul_u32_u24_e32 v7, 0xc8, v5
	v_addc_co_u32_e64 v1, s[8:9], 0, v1, s[8:9]
	s_and_saveexec_b64 s[8:9], s[4:5]
	s_cbranch_execz .LBB1_13
; %bb.7:
	s_and_saveexec_b64 s[12:13], s[0:1]
	s_cbranch_execz .LBB1_10
; %bb.8:
	v_lshlrev_b32_e32 v2, 3, v6
	v_add_co_u32_e64 v2, s[4:5], v0, v2
	v_addc_co_u32_e64 v3, s[4:5], 0, v1, s[4:5]
	v_add_co_u32_e64 v10, s[4:5], v2, v7
	v_addc_co_u32_e64 v11, s[4:5], 0, v3, s[4:5]
	global_load_dwordx2 v[10:11], v[10:11], off
	v_lshlrev_b32_e32 v9, 3, v5
	v_mul_u32_u24_e32 v12, 0xc8, v6
	s_movk_i32 s4, 0xc8
	v_add3_u32 v9, v12, v8, v9
	s_waitcnt vmcnt(0)
	ds_write_b64 v9, v[10:11]
	s_and_b64 exec, exec, vcc
	s_cbranch_execz .LBB1_10
; %bb.9:
	global_load_dwordx2 v[2:3], v[2:3], off offset:800
	v_mad_u32_u24 v9, v6, s4, v8
	s_waitcnt vmcnt(0)
	ds_write_b64 v9, v[2:3] offset:32
.LBB1_10:
	s_or_b64 exec, exec, s[12:13]
	s_and_b64 exec, exec, s[16:17]
	s_cbranch_execz .LBB1_13
; %bb.11:
	v_lshlrev_b32_e32 v2, 3, v6
	v_mov_b32_e32 v3, s19
	v_add_co_u32_e64 v2, s[4:5], s18, v2
	v_addc_co_u32_e64 v3, s[4:5], 0, v3, s[4:5]
	v_add_co_u32_e64 v10, s[4:5], v2, v7
	v_addc_co_u32_e64 v11, s[4:5], 0, v3, s[4:5]
	global_load_dwordx2 v[10:11], v[10:11], off offset:160
	v_lshlrev_b32_e32 v9, 3, v5
	s_movk_i32 s4, 0xc8
	v_mad_u32_u24 v9, v6, s4, v9
	s_waitcnt vmcnt(0)
	ds_write_b64 v9, v[10:11] offset:160
	s_and_b64 exec, exec, vcc
	s_cbranch_execz .LBB1_13
; %bb.12:
	global_load_dwordx2 v[2:3], v[2:3], off offset:960
	v_mul_u32_u24_e32 v9, 0xc8, v6
	s_waitcnt vmcnt(0)
	ds_write_b64 v9, v[2:3] offset:192
.LBB1_13:
	s_or_b64 exec, exec, s[8:9]
	v_cmp_eq_u32_e64 s[4:5], 0, v6
	s_xor_b64 s[2:3], s[2:3], -1
	s_and_b64 s[2:3], s[4:5], s[2:3]
	s_and_b64 exec, exec, s[2:3]
	s_cbranch_execz .LBB1_20
; %bb.14:
	s_and_saveexec_b64 s[2:3], s[0:1]
	s_cbranch_execz .LBB1_17
; %bb.15:
	v_add_co_u32_e64 v2, s[0:1], v0, v7
	v_addc_co_u32_e64 v3, s[0:1], 0, v1, s[0:1]
	global_load_dwordx2 v[2:3], v[2:3], off offset:32
	v_lshlrev_b32_e32 v9, 3, v5
	v_mad_u32_u24 v9, v4, 40, v9
	s_waitcnt vmcnt(0)
	ds_write_b64 v9, v[2:3] offset:800
	s_and_b64 exec, exec, vcc
	s_cbranch_execz .LBB1_17
; %bb.16:
	global_load_dwordx2 v[0:1], v[0:1], off offset:832
	s_waitcnt vmcnt(0)
	ds_write_b64 v8, v[0:1] offset:832
.LBB1_17:
	s_or_b64 exec, exec, s[2:3]
	s_and_b64 exec, exec, s[16:17]
	s_cbranch_execz .LBB1_20
; %bb.18:
	s_add_u32 s2, s18, 0xa0
	s_addc_u32 s3, s19, 0
	v_mov_b32_e32 v1, s3
	v_add_co_u32_e64 v0, s[0:1], s2, v7
	v_addc_co_u32_e64 v1, s[0:1], 0, v1, s[0:1]
	global_load_dwordx2 v[0:1], v[0:1], off offset:32
	v_lshlrev_b32_e32 v2, 3, v5
	s_waitcnt vmcnt(0)
	ds_write_b64 v2, v[0:1] offset:960
	s_and_b64 exec, exec, vcc
	s_cbranch_execz .LBB1_20
; %bb.19:
	s_load_dwordx2 s[0:1], s[2:3], 0x340
	v_mov_b32_e32 v2, 0
	s_waitcnt lgkmcnt(0)
	v_pk_mov_b32 v[0:1], s[0:1], s[0:1] op_sel:[0,1]
	ds_write_b64 v2, v[0:1] offset:992
.LBB1_20:
	s_or_b64 exec, exec, s[10:11]
	v_cmp_gt_u32_e32 vcc, 4, v6
	s_waitcnt lgkmcnt(0)
	; wave barrier
	s_waitcnt lgkmcnt(0)
	s_and_saveexec_b64 s[0:1], vcc
	s_cbranch_execz .LBB1_25
; %bb.21:
	v_cmp_gt_u32_e32 vcc, 4, v4
	s_and_b64 exec, exec, vcc
	s_cbranch_execz .LBB1_25
; %bb.22:
	v_cmp_gt_u32_e32 vcc, 4, v5
	s_and_b64 exec, exec, vcc
	s_cbranch_execz .LBB1_25
; %bb.23:
	v_lshlrev_b32_e32 v3, 3, v4
	v_lshlrev_b32_e32 v0, 5, v4
	v_add_u32_e32 v1, 0x3f0, v3
	v_lshlrev_b32_e32 v4, 3, v5
	buffer_store_dword v1, off, s[20:23], 0 offset:2036 ; 4-byte Folded Spill
	v_add_u32_e32 v1, 0x3f0, v4
	buffer_store_dword v1, off, s[20:23], 0 offset:1928 ; 4-byte Folded Spill
	v_lshlrev_b32_e32 v1, 3, v6
	ds_read2_b64 v[6:9], v4 offset0:126 offset1:130
	v_lshlrev_b32_e32 v2, 7, v5
	v_add_u32_e32 v5, 0x3f0, v1
	buffer_store_dword v5, off, s[20:23], 0 offset:2044 ; 4-byte Folded Spill
	s_waitcnt lgkmcnt(0)
	buffer_store_dword v6, off, s[20:23], 0 offset:1864 ; 4-byte Folded Spill
	s_nop 0
	buffer_store_dword v7, off, s[20:23], 0 offset:1868 ; 4-byte Folded Spill
	buffer_store_dword v8, off, s[20:23], 0 offset:1872 ; 4-byte Folded Spill
	;; [unrolled: 1-line block ×3, first 2 shown]
	v_mov_b32_e32 v254, 0
	ds_read2_b64 v[6:9], v254 offset0:126 offset1:130
	s_waitcnt lgkmcnt(0)
	buffer_store_dword v6, off, s[20:23], 0 offset:1880 ; 4-byte Folded Spill
	s_nop 0
	buffer_store_dword v7, off, s[20:23], 0 offset:1884 ; 4-byte Folded Spill
	buffer_store_dword v8, off, s[20:23], 0 offset:1888 ; 4-byte Folded Spill
	buffer_store_dword v9, off, s[20:23], 0 offset:1892 ; 4-byte Folded Spill
	ds_read2_b64 v[6:9], v4 offset0:134 offset1:138
	s_waitcnt lgkmcnt(0)
	buffer_store_dword v6, off, s[20:23], 0 offset:1896 ; 4-byte Folded Spill
	s_nop 0
	buffer_store_dword v7, off, s[20:23], 0 offset:1900 ; 4-byte Folded Spill
	buffer_store_dword v8, off, s[20:23], 0 offset:1904 ; 4-byte Folded Spill
	buffer_store_dword v9, off, s[20:23], 0 offset:1908 ; 4-byte Folded Spill
	ds_read2_b64 v[6:9], v254 offset0:134 offset1:138
	s_waitcnt lgkmcnt(0)
	buffer_store_dword v6, off, s[20:23], 0 offset:1912 ; 4-byte Folded Spill
	s_nop 0
	buffer_store_dword v7, off, s[20:23], 0 offset:1916 ; 4-byte Folded Spill
	buffer_store_dword v8, off, s[20:23], 0 offset:1920 ; 4-byte Folded Spill
	buffer_store_dword v9, off, s[20:23], 0 offset:1924 ; 4-byte Folded Spill
	ds_read_b64 v[6:7], v254 offset:1136
	s_waitcnt lgkmcnt(0)
	buffer_store_dword v6, off, s[20:23], 0 offset:1932 ; 4-byte Folded Spill
	s_nop 0
	buffer_store_dword v7, off, s[20:23], 0 offset:1936 ; 4-byte Folded Spill
	ds_read2_b64 v[6:9], v3 offset0:126 offset1:130
	s_waitcnt lgkmcnt(0)
	buffer_store_dword v6, off, s[20:23], 0 offset:528 ; 4-byte Folded Spill
	s_nop 0
	buffer_store_dword v7, off, s[20:23], 0 offset:532 ; 4-byte Folded Spill
	buffer_store_dword v8, off, s[20:23], 0 offset:536 ; 4-byte Folded Spill
	;; [unrolled: 1-line block ×3, first 2 shown]
	ds_read2_b64 v[6:9], v3 offset0:134 offset1:138
	s_waitcnt lgkmcnt(0)
	buffer_store_dword v6, off, s[20:23], 0 offset:544 ; 4-byte Folded Spill
	s_nop 0
	buffer_store_dword v7, off, s[20:23], 0 offset:548 ; 4-byte Folded Spill
	buffer_store_dword v8, off, s[20:23], 0 offset:552 ; 4-byte Folded Spill
	;; [unrolled: 1-line block ×3, first 2 shown]
	ds_read_b64 v[6:7], v1 offset:1136
	s_waitcnt lgkmcnt(0)
	buffer_store_dword v6, off, s[20:23], 0 offset:1940 ; 4-byte Folded Spill
	s_nop 0
	buffer_store_dword v7, off, s[20:23], 0 offset:1944 ; 4-byte Folded Spill
	ds_read_b64 v[4:5], v4 offset:1136
	s_waitcnt lgkmcnt(0)
	buffer_store_dword v4, off, s[20:23], 0 offset:2028 ; 4-byte Folded Spill
	s_nop 0
	buffer_store_dword v5, off, s[20:23], 0 offset:2032 ; 4-byte Folded Spill
	ds_read_b64 v[4:5], v3 offset:1136
	s_waitcnt lgkmcnt(0)
	buffer_store_dword v4, off, s[20:23], 0 offset:560 ; 4-byte Folded Spill
	s_nop 0
	buffer_store_dword v5, off, s[20:23], 0 offset:564 ; 4-byte Folded Spill
	ds_read2_b64 v[4:7], v1 offset0:126 offset1:130
	s_waitcnt lgkmcnt(0)
	buffer_store_dword v4, off, s[20:23], 0 offset:1948 ; 4-byte Folded Spill
	s_nop 0
	buffer_store_dword v5, off, s[20:23], 0 offset:1952 ; 4-byte Folded Spill
	buffer_store_dword v6, off, s[20:23], 0 offset:1956 ; 4-byte Folded Spill
	;; [unrolled: 1-line block ×3, first 2 shown]
	ds_read2_b64 v[4:7], v254 offset1:124
	s_waitcnt lgkmcnt(0)
	buffer_store_dword v4, off, s[20:23], 0 offset:1964 ; 4-byte Folded Spill
	s_nop 0
	buffer_store_dword v5, off, s[20:23], 0 offset:1968 ; 4-byte Folded Spill
	buffer_store_dword v6, off, s[20:23], 0 offset:1972 ; 4-byte Folded Spill
	;; [unrolled: 1-line block ×3, first 2 shown]
	ds_read_b128 v[4:7], v254
	s_waitcnt lgkmcnt(0)
	buffer_store_dword v4, off, s[20:23], 0 offset:1980 ; 4-byte Folded Spill
	s_nop 0
	buffer_store_dword v5, off, s[20:23], 0 offset:1984 ; 4-byte Folded Spill
	buffer_store_dword v6, off, s[20:23], 0 offset:1988 ; 4-byte Folded Spill
	;; [unrolled: 1-line block ×3, first 2 shown]
	ds_read2_b64 v[4:7], v254 offset0:1 offset1:2
	s_lshl_b64 s[0:1], s[6:7], 15
	v_mov_b32_e32 v3, s1
	v_add_co_u32_e32 v2, vcc, s0, v2
	s_waitcnt lgkmcnt(0)
	buffer_store_dword v4, off, s[20:23], 0 offset:1996 ; 4-byte Folded Spill
	s_nop 0
	buffer_store_dword v5, off, s[20:23], 0 offset:2000 ; 4-byte Folded Spill
	buffer_store_dword v6, off, s[20:23], 0 offset:2004 ; 4-byte Folded Spill
	;; [unrolled: 1-line block ×3, first 2 shown]
	v_addc_co_u32_e32 v3, vcc, 0, v3, vcc
	ds_read2_b64 v[4:7], v1 offset0:134 offset1:138
	v_add_co_u32_e32 v0, vcc, v2, v0
	v_addc_co_u32_e32 v2, vcc, 0, v3, vcc
	v_add_co_u32_e32 v0, vcc, v0, v1
	v_addc_co_u32_e32 v1, vcc, 0, v2, vcc
	v_mov_b32_e32 v2, s15
	v_add_co_u32_e32 v0, vcc, s14, v0
	s_waitcnt lgkmcnt(0)
	buffer_store_dword v4, off, s[20:23], 0 offset:2012 ; 4-byte Folded Spill
	s_nop 0
	buffer_store_dword v5, off, s[20:23], 0 offset:2016 ; 4-byte Folded Spill
	buffer_store_dword v6, off, s[20:23], 0 offset:2020 ; 4-byte Folded Spill
	;; [unrolled: 1-line block ×4, first 2 shown]
	v_addc_co_u32_e32 v0, vcc, v2, v1, vcc
	buffer_store_dword v0, off, s[20:23], 0 offset:2640 ; 4-byte Folded Spill
	ds_read_b128 v[0:3], v254 offset:16
	s_waitcnt lgkmcnt(0)
	buffer_store_dword v0, off, s[20:23], 0 offset:2048 ; 4-byte Folded Spill
	s_nop 0
	buffer_store_dword v1, off, s[20:23], 0 offset:2052 ; 4-byte Folded Spill
	buffer_store_dword v2, off, s[20:23], 0 offset:2056 ; 4-byte Folded Spill
	;; [unrolled: 1-line block ×3, first 2 shown]
	ds_read2_b64 v[0:3], v254 offset0:3 offset1:4
	s_waitcnt lgkmcnt(0)
	buffer_store_dword v0, off, s[20:23], 0 offset:2064 ; 4-byte Folded Spill
	s_nop 0
	buffer_store_dword v1, off, s[20:23], 0 offset:2068 ; 4-byte Folded Spill
	buffer_store_dword v2, off, s[20:23], 0 offset:2072 ; 4-byte Folded Spill
	;; [unrolled: 1-line block ×3, first 2 shown]
	ds_read_b128 v[0:3], v254 offset:32
	s_waitcnt lgkmcnt(0)
	buffer_store_dword v0, off, s[20:23], 0 ; 4-byte Folded Spill
	s_nop 0
	buffer_store_dword v1, off, s[20:23], 0 offset:4 ; 4-byte Folded Spill
	buffer_store_dword v2, off, s[20:23], 0 offset:8 ; 4-byte Folded Spill
	buffer_store_dword v3, off, s[20:23], 0 offset:12 ; 4-byte Folded Spill
	ds_read2_b64 v[0:3], v254 offset0:5 offset1:6
	s_waitcnt lgkmcnt(0)
	buffer_store_dword v0, off, s[20:23], 0 offset:2080 ; 4-byte Folded Spill
	s_nop 0
	buffer_store_dword v1, off, s[20:23], 0 offset:2084 ; 4-byte Folded Spill
	buffer_store_dword v2, off, s[20:23], 0 offset:2088 ; 4-byte Folded Spill
	buffer_store_dword v3, off, s[20:23], 0 offset:2092 ; 4-byte Folded Spill
	ds_read_b128 v[0:3], v254 offset:48
	s_waitcnt lgkmcnt(0)
	buffer_store_dword v0, off, s[20:23], 0 offset:2096 ; 4-byte Folded Spill
	s_nop 0
	buffer_store_dword v1, off, s[20:23], 0 offset:2100 ; 4-byte Folded Spill
	buffer_store_dword v2, off, s[20:23], 0 offset:2104 ; 4-byte Folded Spill
	buffer_store_dword v3, off, s[20:23], 0 offset:2108 ; 4-byte Folded Spill
	ds_read2_b64 v[0:3], v254 offset0:7 offset1:8
	s_waitcnt lgkmcnt(0)
	buffer_store_dword v0, off, s[20:23], 0 offset:2112 ; 4-byte Folded Spill
	s_nop 0
	buffer_store_dword v1, off, s[20:23], 0 offset:2116 ; 4-byte Folded Spill
	buffer_store_dword v2, off, s[20:23], 0 offset:2120 ; 4-byte Folded Spill
	buffer_store_dword v3, off, s[20:23], 0 offset:2124 ; 4-byte Folded Spill
	ds_read_b128 v[0:3], v254 offset:64
	s_waitcnt lgkmcnt(0)
	buffer_store_dword v0, off, s[20:23], 0 offset:2128 ; 4-byte Folded Spill
	;; [unrolled: 14-line block ×14, first 2 shown]
	s_nop 0
	buffer_store_dword v1, off, s[20:23], 0 offset:2468 ; 4-byte Folded Spill
	buffer_store_dword v2, off, s[20:23], 0 offset:2472 ; 4-byte Folded Spill
	buffer_store_dword v3, off, s[20:23], 0 offset:2476 ; 4-byte Folded Spill
	ds_read_b128 v[0:3], v254 offset:272
	s_waitcnt lgkmcnt(0)
	buffer_store_dword v0, off, s[20:23], 0 offset:568 ; 4-byte Folded Spill
	s_nop 0
	buffer_store_dword v1, off, s[20:23], 0 offset:572 ; 4-byte Folded Spill
	buffer_store_dword v2, off, s[20:23], 0 offset:576 ; 4-byte Folded Spill
	buffer_store_dword v3, off, s[20:23], 0 offset:580 ; 4-byte Folded Spill
	ds_read_b128 v[0:3], v254 offset:288
	s_waitcnt lgkmcnt(0)
	buffer_store_dword v0, off, s[20:23], 0 offset:584 ; 4-byte Folded Spill
	;; [unrolled: 7-line block ×54, first 2 shown]
	s_nop 0
	buffer_store_dword v1, off, s[20:23], 0 offset:3224 ; 4-byte Folded Spill
	buffer_store_dword v2, off, s[20:23], 0 offset:3228 ; 4-byte Folded Spill
	;; [unrolled: 1-line block ×3, first 2 shown]
	ds_read_b128 v[0:3], v254 offset:1152
	s_movk_i32 s2, 0x3f0
	s_mov_b64 s[0:1], 0
	s_movk_i32 s3, 0x2000
	s_movk_i32 s4, 0x4000
	s_movk_i32 s5, 0x6000
	s_movk_i32 s6, 0x1000
	s_movk_i32 s7, 0x3000
	s_movk_i32 s8, 0x5000
	s_movk_i32 s9, 0x7000
	s_waitcnt lgkmcnt(0)
	buffer_store_dword v0, off, s[20:23], 0 offset:3236 ; 4-byte Folded Spill
	s_nop 0
	buffer_store_dword v1, off, s[20:23], 0 offset:3240 ; 4-byte Folded Spill
	buffer_store_dword v2, off, s[20:23], 0 offset:3244 ; 4-byte Folded Spill
	;; [unrolled: 1-line block ×3, first 2 shown]
.LBB1_24:                               ; =>This Inner Loop Header: Depth=1
	buffer_load_dword v0, off, s[20:23], 0 offset:2040 ; 4-byte Folded Reload
	s_nop 0
	buffer_load_dword v1, off, s[20:23], 0 offset:2640 ; 4-byte Folded Reload
	v_mov_b32_e32 v255, s2
	s_waitcnt vmcnt(1)
	v_add_co_u32_e32 v26, vcc, s0, v0
	v_mov_b32_e32 v0, s1
	s_waitcnt vmcnt(0)
	v_addc_co_u32_e32 v27, vcc, v1, v0, vcc
	ds_read_b64 v[0:1], v255
	ds_read2_b64 v[18:21], v255 offset1:4
	s_waitcnt lgkmcnt(0)
	buffer_store_dword v18, off, s[20:23], 0 offset:1096 ; 4-byte Folded Spill
	s_nop 0
	buffer_store_dword v19, off, s[20:23], 0 offset:1100 ; 4-byte Folded Spill
	buffer_store_dword v20, off, s[20:23], 0 offset:1104 ; 4-byte Folded Spill
	buffer_store_dword v21, off, s[20:23], 0 offset:1108 ; 4-byte Folded Spill
	buffer_load_dword v16, off, s[20:23], 0 offset:1948 ; 4-byte Folded Reload
	s_nop 0
	buffer_load_dword v17, off, s[20:23], 0 offset:1952 ; 4-byte Folded Reload
	buffer_load_dword v18, off, s[20:23], 0 offset:1956 ; 4-byte Folded Reload
	;; [unrolled: 1-line block ×7, first 2 shown]
	s_add_u32 s0, s0, 0x200
	s_addc_u32 s1, s1, 0
	s_add_i32 s2, s2, 8
	s_cmp_lg_u64 s[0:1], 0x800
	s_waitcnt vmcnt(6)
	v_mul_f64 v[2:3], v[16:17], v[0:1]
	s_waitcnt vmcnt(2)
	v_mul_f64 v[0:1], v[4:5], v[2:3]
	buffer_store_dword v0, off, s[20:23], 0 offset:696 ; 4-byte Folded Spill
	s_nop 0
	buffer_store_dword v1, off, s[20:23], 0 offset:700 ; 4-byte Folded Spill
	buffer_load_dword v12, off, s[20:23], 0 offset:1880 ; 4-byte Folded Reload
	buffer_load_dword v13, off, s[20:23], 0 offset:1884 ; 4-byte Folded Reload
	buffer_load_dword v14, off, s[20:23], 0 offset:1888 ; 4-byte Folded Reload
	buffer_load_dword v15, off, s[20:23], 0 offset:1892 ; 4-byte Folded Reload
	buffer_load_dword v28, off, s[20:23], 0 offset:1864 ; 4-byte Folded Reload
	buffer_load_dword v29, off, s[20:23], 0 offset:1868 ; 4-byte Folded Reload
	buffer_load_dword v30, off, s[20:23], 0 offset:1872 ; 4-byte Folded Reload
	buffer_load_dword v31, off, s[20:23], 0 offset:1876 ; 4-byte Folded Reload
	s_waitcnt vmcnt(10)
	v_pk_mov_b32 v[48:49], v[6:7], v[6:7] op_sel:[0,1]
	v_pk_mov_b32 v[46:47], v[4:5], v[4:5] op_sel:[0,1]
	buffer_load_dword v54, off, s[20:23], 0 offset:1964 ; 4-byte Folded Reload
	buffer_load_dword v55, off, s[20:23], 0 offset:1968 ; 4-byte Folded Reload
	;; [unrolled: 1-line block ×4, first 2 shown]
	v_pk_mov_b32 v[138:139], v[48:49], v[48:49] op_sel:[0,1]
	v_pk_mov_b32 v[136:137], v[46:47], v[46:47] op_sel:[0,1]
	s_waitcnt vmcnt(10)
	v_mul_f64 v[4:5], v[12:13], v[0:1]
	s_waitcnt vmcnt(4)
	v_mul_f64 v[8:9], v[30:31], v[4:5]
	v_mul_f64 v[6:7], v[14:15], v[8:9]
	v_pk_mov_b32 v[76:77], v[8:9], v[8:9] op_sel:[0,1]
	buffer_load_dword v8, off, s[20:23], 0 offset:1980 ; 4-byte Folded Reload
	buffer_load_dword v9, off, s[20:23], 0 offset:1984 ; 4-byte Folded Reload
	;; [unrolled: 1-line block ×8, first 2 shown]
	v_mul_f64 v[36:37], v[28:29], v[4:5]
	v_mul_f64 v[0:1], v[12:13], v[36:37]
	s_waitcnt vmcnt(10)
	v_fma_f64 v[0:1], v[54:55], v[0:1], 0
	v_accvgpr_write_b32 a12, v76
	v_accvgpr_write_b32 a13, v77
	s_waitcnt vmcnt(8)
	v_accvgpr_write_b32 a123, v57
	v_accvgpr_write_b32 a122, v56
	;; [unrolled: 1-line block ×4, first 2 shown]
	s_waitcnt vmcnt(4)
	v_pk_mov_b32 v[72:73], v[10:11], v[10:11] op_sel:[0,1]
	s_waitcnt vmcnt(2)
	v_mul_f64 v[16:17], v[38:39], v[4:5]
	v_fmac_f64_e32 v[0:1], v[10:11], v[6:7]
	v_pk_mov_b32 v[70:71], v[8:9], v[8:9] op_sel:[0,1]
	buffer_load_dword v8, off, s[20:23], 0 offset:1912 ; 4-byte Folded Reload
	buffer_load_dword v9, off, s[20:23], 0 offset:1916 ; 4-byte Folded Reload
	;; [unrolled: 1-line block ×4, first 2 shown]
	v_pk_mov_b32 v[74:75], v[16:17], v[16:17] op_sel:[0,1]
	buffer_store_dword v74, off, s[20:23], 0 offset:1576 ; 4-byte Folded Spill
	s_nop 0
	buffer_store_dword v75, off, s[20:23], 0 offset:1580 ; 4-byte Folded Spill
	buffer_load_dword v22, off, s[20:23], 0 offset:1996 ; 4-byte Folded Reload
	buffer_load_dword v23, off, s[20:23], 0 offset:2000 ; 4-byte Folded Reload
	buffer_load_dword v24, off, s[20:23], 0 offset:2004 ; 4-byte Folded Reload
	buffer_load_dword v25, off, s[20:23], 0 offset:2008 ; 4-byte Folded Reload
	s_waitcnt vmcnt(8)
	v_mul_f64 v[6:7], v[8:9], v[16:17]
	v_mul_f64 v[16:17], v[40:41], v[4:5]
	v_pk_mov_b32 v[78:79], v[16:17], v[16:17] op_sel:[0,1]
	s_waitcnt vmcnt(0)
	v_accvgpr_write_b32 a163, v25
	buffer_store_dword v78, off, s[20:23], 0 offset:1592 ; 4-byte Folded Spill
	s_nop 0
	buffer_store_dword v79, off, s[20:23], 0 offset:1596 ; 4-byte Folded Spill
	v_fmac_f64_e32 v[0:1], v[24:25], v[6:7]
	v_accvgpr_write_b32 a162, v24
	v_accvgpr_write_b32 a161, v23
	;; [unrolled: 1-line block ×3, first 2 shown]
	buffer_load_dword v22, off, s[20:23], 0 offset:2048 ; 4-byte Folded Reload
	buffer_load_dword v23, off, s[20:23], 0 offset:2052 ; 4-byte Folded Reload
	;; [unrolled: 1-line block ×6, first 2 shown]
	v_mul_f64 v[6:7], v[10:11], v[16:17]
	buffer_load_dword v16, off, s[20:23], 0 offset:1932 ; 4-byte Folded Reload
	buffer_load_dword v17, off, s[20:23], 0 offset:1936 ; 4-byte Folded Reload
	s_waitcnt vmcnt(4)
	v_fmac_f64_e32 v[0:1], v[24:25], v[6:7]
	s_waitcnt vmcnt(2)
	v_mul_f64 v[6:7], v[104:105], v[4:5]
	v_accvgpr_write_b32 a37, v7
	v_accvgpr_write_b32 a36, v6
	;; [unrolled: 1-line block ×3, first 2 shown]
	buffer_store_dword a36, off, s[20:23], 0 offset:1608 ; 4-byte Folded Spill
	s_nop 0
	buffer_store_dword a37, off, s[20:23], 0 offset:1612 ; 4-byte Folded Spill
	v_accvgpr_write_b32 a82, v24
	v_accvgpr_write_b32 a81, v23
	;; [unrolled: 1-line block ×3, first 2 shown]
	buffer_load_dword v22, off, s[20:23], 0 offset:2064 ; 4-byte Folded Reload
	buffer_load_dword v23, off, s[20:23], 0 offset:2068 ; 4-byte Folded Reload
	;; [unrolled: 1-line block ×4, first 2 shown]
	s_waitcnt vmcnt(6)
	v_mul_f64 v[4:5], v[16:17], v[6:7]
	s_waitcnt vmcnt(0)
	v_fmac_f64_e32 v[0:1], v[4:5], v[24:25]
	v_mul_f64 v[4:5], v[48:49], v[2:3]
	buffer_store_dword v4, off, s[20:23], 0 offset:728 ; 4-byte Folded Spill
	s_nop 0
	buffer_store_dword v5, off, s[20:23], 0 offset:732 ; 4-byte Folded Spill
	v_accvgpr_write_b32 a93, v25
	v_accvgpr_write_b32 a92, v24
	;; [unrolled: 1-line block ×4, first 2 shown]
	v_mul_f64 v[4:5], v[14:15], v[4:5]
	v_mul_f64 v[22:23], v[28:29], v[4:5]
	v_pk_mov_b32 v[84:85], v[22:23], v[22:23] op_sel:[0,1]
	buffer_store_dword v84, off, s[20:23], 0 offset:1672 ; 4-byte Folded Spill
	s_nop 0
	buffer_store_dword v85, off, s[20:23], 0 offset:1676 ; 4-byte Folded Spill
	v_mul_f64 v[6:7], v[12:13], v[22:23]
	buffer_load_dword v22, off, s[20:23], 0 ; 4-byte Folded Reload
	buffer_load_dword v23, off, s[20:23], 0 offset:4 ; 4-byte Folded Reload
	buffer_load_dword v24, off, s[20:23], 0 offset:8 ; 4-byte Folded Reload
	;; [unrolled: 1-line block ×3, first 2 shown]
	v_mul_f64 v[82:83], v[40:41], v[4:5]
	v_mul_f64 v[158:159], v[104:105], v[4:5]
	s_waitcnt vmcnt(0)
	v_pk_mov_b32 v[34:35], v[24:25], v[24:25] op_sel:[0,1]
	v_pk_mov_b32 v[32:33], v[22:23], v[22:23] op_sel:[0,1]
	v_mul_f64 v[22:23], v[30:31], v[4:5]
	v_accvgpr_write_b32 a18, v22
	v_fmac_f64_e32 v[0:1], v[6:7], v[24:25]
	v_mul_f64 v[6:7], v[14:15], v[22:23]
	v_accvgpr_write_b32 a19, v23
	buffer_load_dword v22, off, s[20:23], 0 offset:2080 ; 4-byte Folded Reload
	buffer_load_dword v23, off, s[20:23], 0 offset:2084 ; 4-byte Folded Reload
	;; [unrolled: 1-line block ×4, first 2 shown]
	v_mul_f64 v[32:33], v[38:39], v[4:5]
	v_mul_f64 v[4:5], v[16:17], v[158:159]
	s_waitcnt vmcnt(0)
	v_fmac_f64_e32 v[0:1], v[6:7], v[24:25]
	v_accvgpr_write_b32 a20, v22
	v_mul_f64 v[6:7], v[8:9], v[32:33]
	buffer_store_dword v32, off, s[20:23], 0 offset:1624 ; 4-byte Folded Spill
	s_nop 0
	buffer_store_dword v33, off, s[20:23], 0 offset:1628 ; 4-byte Folded Spill
	v_accvgpr_write_b32 a21, v23
	v_accvgpr_write_b32 a22, v24
	;; [unrolled: 1-line block ×3, first 2 shown]
	buffer_load_dword v22, off, s[20:23], 0 offset:2096 ; 4-byte Folded Reload
	buffer_load_dword v23, off, s[20:23], 0 offset:2100 ; 4-byte Folded Reload
	buffer_load_dword v24, off, s[20:23], 0 offset:2104 ; 4-byte Folded Reload
	buffer_load_dword v25, off, s[20:23], 0 offset:2108 ; 4-byte Folded Reload
	s_waitcnt vmcnt(0)
	v_fmac_f64_e32 v[0:1], v[6:7], v[24:25]
	v_accvgpr_write_b32 a27, v25
	v_mul_f64 v[6:7], v[10:11], v[82:83]
	buffer_store_dword v82, off, s[20:23], 0 offset:1640 ; 4-byte Folded Spill
	s_nop 0
	buffer_store_dword v83, off, s[20:23], 0 offset:1644 ; 4-byte Folded Spill
	v_accvgpr_write_b32 a26, v24
	v_accvgpr_write_b32 a25, v23
	;; [unrolled: 1-line block ×3, first 2 shown]
	buffer_load_dword v22, off, s[20:23], 0 offset:2112 ; 4-byte Folded Reload
	buffer_load_dword v23, off, s[20:23], 0 offset:2116 ; 4-byte Folded Reload
	buffer_load_dword v24, off, s[20:23], 0 offset:2120 ; 4-byte Folded Reload
	buffer_load_dword v25, off, s[20:23], 0 offset:2124 ; 4-byte Folded Reload
	s_nop 0
	buffer_store_dword v158, off, s[20:23], 0 offset:1656 ; 4-byte Folded Spill
	s_nop 0
	buffer_store_dword v159, off, s[20:23], 0 offset:1660 ; 4-byte Folded Spill
	s_waitcnt vmcnt(2)
	v_accvgpr_write_b32 a31, v25
	v_fmac_f64_e32 v[0:1], v[6:7], v[24:25]
	v_accvgpr_write_b32 a30, v24
	v_accvgpr_write_b32 a29, v23
	;; [unrolled: 1-line block ×3, first 2 shown]
	buffer_load_dword v22, off, s[20:23], 0 offset:2128 ; 4-byte Folded Reload
	buffer_load_dword v23, off, s[20:23], 0 offset:2132 ; 4-byte Folded Reload
	;; [unrolled: 1-line block ×4, first 2 shown]
	s_waitcnt vmcnt(0)
	v_accvgpr_write_b32 a14, v22
	v_fmac_f64_e32 v[0:1], v[4:5], v[24:25]
	v_accvgpr_write_b32 a15, v23
	v_accvgpr_write_b32 a16, v24
	;; [unrolled: 1-line block ×3, first 2 shown]
	buffer_load_dword v22, off, s[20:23], 0 offset:544 ; 4-byte Folded Reload
	buffer_load_dword v23, off, s[20:23], 0 offset:548 ; 4-byte Folded Reload
	;; [unrolled: 1-line block ×4, first 2 shown]
	s_waitcnt vmcnt(2)
	v_mul_f64 v[4:5], v[22:23], v[2:3]
	buffer_store_dword v4, off, s[20:23], 0 offset:744 ; 4-byte Folded Spill
	s_nop 0
	buffer_store_dword v5, off, s[20:23], 0 offset:748 ; 4-byte Folded Spill
	s_waitcnt vmcnt(2)
	v_pk_mov_b32 v[52:53], v[24:25], v[24:25] op_sel:[0,1]
	v_pk_mov_b32 v[50:51], v[22:23], v[22:23] op_sel:[0,1]
	v_mul_f64 v[4:5], v[8:9], v[4:5]
	v_mul_f64 v[6:7], v[28:29], v[4:5]
	buffer_store_dword v6, off, s[20:23], 0 offset:208 ; 4-byte Folded Spill
	s_nop 0
	buffer_store_dword v7, off, s[20:23], 0 offset:212 ; 4-byte Folded Spill
	buffer_load_dword v126, off, s[20:23], 0 offset:2144 ; 4-byte Folded Reload
	buffer_load_dword v127, off, s[20:23], 0 offset:2148 ; 4-byte Folded Reload
	;; [unrolled: 1-line block ×4, first 2 shown]
	v_mul_f64 v[22:23], v[38:39], v[4:5]
	v_accvgpr_write_b32 a71, v23
	v_accvgpr_write_b32 a70, v22
	v_mul_f64 v[6:7], v[12:13], v[6:7]
	s_waitcnt vmcnt(0)
	v_fmac_f64_e32 v[0:1], v[6:7], v[128:129]
	v_mul_f64 v[6:7], v[30:31], v[4:5]
	buffer_store_dword v6, off, s[20:23], 0 offset:80 ; 4-byte Folded Spill
	s_nop 0
	buffer_store_dword v7, off, s[20:23], 0 offset:84 ; 4-byte Folded Spill
	buffer_load_dword v110, off, s[20:23], 0 offset:2160 ; 4-byte Folded Reload
	buffer_load_dword v111, off, s[20:23], 0 offset:2164 ; 4-byte Folded Reload
	;; [unrolled: 1-line block ×8, first 2 shown]
	v_accvgpr_write_b32 a98, v126
	v_accvgpr_write_b32 a99, v127
	;; [unrolled: 1-line block ×4, first 2 shown]
	v_mul_f64 v[6:7], v[14:15], v[6:7]
	s_waitcnt vmcnt(4)
	v_fmac_f64_e32 v[0:1], v[6:7], v[112:113]
	v_mul_f64 v[6:7], v[8:9], v[22:23]
	s_waitcnt vmcnt(0)
	v_fmac_f64_e32 v[0:1], v[6:7], v[88:89]
	v_mul_f64 v[6:7], v[40:41], v[4:5]
	buffer_store_dword v6, off, s[20:23], 0 offset:224 ; 4-byte Folded Spill
	s_nop 0
	buffer_store_dword v7, off, s[20:23], 0 offset:228 ; 4-byte Folded Spill
	buffer_load_dword v22, off, s[20:23], 0 offset:2192 ; 4-byte Folded Reload
	buffer_load_dword v23, off, s[20:23], 0 offset:2196 ; 4-byte Folded Reload
	;; [unrolled: 1-line block ×8, first 2 shown]
	v_accvgpr_write_b32 a46, v110
	v_accvgpr_write_b32 a47, v111
	;; [unrolled: 1-line block ×4, first 2 shown]
	v_mul_f64 v[6:7], v[10:11], v[6:7]
	s_waitcnt vmcnt(4)
	v_fmac_f64_e32 v[0:1], v[6:7], v[24:25]
	v_mul_f64 v[6:7], v[104:105], v[4:5]
	v_mul_f64 v[4:5], v[16:17], v[6:7]
	s_waitcnt vmcnt(0)
	v_fmac_f64_e32 v[0:1], v[4:5], v[96:97]
	v_mul_f64 v[4:5], v[52:53], v[2:3]
	buffer_store_dword v4, off, s[20:23], 0 offset:776 ; 4-byte Folded Spill
	s_nop 0
	buffer_store_dword v5, off, s[20:23], 0 offset:780 ; 4-byte Folded Spill
	v_accvgpr_write_b32 a69, v7
	v_accvgpr_write_b32 a68, v6
	;; [unrolled: 1-line block ×6, first 2 shown]
	v_mul_f64 v[4:5], v[10:11], v[4:5]
	v_mul_f64 v[6:7], v[28:29], v[4:5]
	buffer_store_dword v6, off, s[20:23], 0 offset:240 ; 4-byte Folded Spill
	s_nop 0
	buffer_store_dword v7, off, s[20:23], 0 offset:244 ; 4-byte Folded Spill
	buffer_load_dword v22, off, s[20:23], 0 offset:2224 ; 4-byte Folded Reload
	buffer_load_dword v23, off, s[20:23], 0 offset:2228 ; 4-byte Folded Reload
	;; [unrolled: 1-line block ×4, first 2 shown]
	v_mul_f64 v[6:7], v[12:13], v[6:7]
	s_waitcnt vmcnt(0)
	v_fmac_f64_e32 v[0:1], v[6:7], v[24:25]
	v_mul_f64 v[6:7], v[30:31], v[4:5]
	v_pk_mov_b32 v[92:93], v[24:25], v[24:25] op_sel:[0,1]
	buffer_store_dword v6, off, s[20:23], 0 offset:256 ; 4-byte Folded Spill
	s_nop 0
	buffer_store_dword v7, off, s[20:23], 0 offset:260 ; 4-byte Folded Spill
	v_pk_mov_b32 v[90:91], v[22:23], v[22:23] op_sel:[0,1]
	buffer_load_dword v22, off, s[20:23], 0 offset:2240 ; 4-byte Folded Reload
	buffer_load_dword v23, off, s[20:23], 0 offset:2244 ; 4-byte Folded Reload
	;; [unrolled: 1-line block ×4, first 2 shown]
	v_mul_f64 v[6:7], v[14:15], v[6:7]
	s_waitcnt vmcnt(0)
	v_fmac_f64_e32 v[0:1], v[6:7], v[24:25]
	v_mul_f64 v[6:7], v[38:39], v[4:5]
	buffer_store_dword v6, off, s[20:23], 0 offset:272 ; 4-byte Folded Spill
	s_nop 0
	buffer_store_dword v7, off, s[20:23], 0 offset:276 ; 4-byte Folded Spill
	buffer_load_dword v130, off, s[20:23], 0 offset:2256 ; 4-byte Folded Reload
	buffer_load_dword v131, off, s[20:23], 0 offset:2260 ; 4-byte Folded Reload
	;; [unrolled: 1-line block ×4, first 2 shown]
	v_accvgpr_write_b32 a41, v25
	v_accvgpr_write_b32 a40, v24
	;; [unrolled: 1-line block ×4, first 2 shown]
	v_mul_f64 v[6:7], v[8:9], v[6:7]
	s_waitcnt vmcnt(0)
	v_fmac_f64_e32 v[0:1], v[6:7], v[132:133]
	v_mul_f64 v[6:7], v[40:41], v[4:5]
	buffer_store_dword v6, off, s[20:23], 0 offset:288 ; 4-byte Folded Spill
	s_nop 0
	buffer_store_dword v7, off, s[20:23], 0 offset:292 ; 4-byte Folded Spill
	buffer_load_dword v22, off, s[20:23], 0 offset:2272 ; 4-byte Folded Reload
	buffer_load_dword v23, off, s[20:23], 0 offset:2276 ; 4-byte Folded Reload
	;; [unrolled: 1-line block ×4, first 2 shown]
	v_mul_f64 v[4:5], v[104:105], v[4:5]
	buffer_store_dword v4, off, s[20:23], 0 offset:304 ; 4-byte Folded Spill
	s_nop 0
	buffer_store_dword v5, off, s[20:23], 0 offset:308 ; 4-byte Folded Spill
	buffer_load_dword v42, off, s[20:23], 0 offset:2288 ; 4-byte Folded Reload
	buffer_load_dword v43, off, s[20:23], 0 offset:2292 ; 4-byte Folded Reload
	;; [unrolled: 1-line block ×4, first 2 shown]
	v_mul_f64 v[6:7], v[10:11], v[6:7]
	s_waitcnt vmcnt(6)
	v_fmac_f64_e32 v[0:1], v[6:7], v[24:25]
	buffer_load_dword v6, off, s[20:23], 0 offset:560 ; 4-byte Folded Reload
	buffer_load_dword v7, off, s[20:23], 0 offset:564 ; 4-byte Folded Reload
	v_mul_f64 v[4:5], v[16:17], v[4:5]
	s_waitcnt vmcnt(2)
	v_fmac_f64_e32 v[0:1], v[4:5], v[44:45]
	v_accvgpr_write_b32 a75, v25
	v_accvgpr_write_b32 a74, v24
	;; [unrolled: 1-line block ×4, first 2 shown]
	s_waitcnt vmcnt(0)
	v_mul_f64 v[2:3], v[6:7], v[2:3]
	buffer_store_dword v2, off, s[20:23], 0 offset:792 ; 4-byte Folded Spill
	s_nop 0
	buffer_store_dword v3, off, s[20:23], 0 offset:796 ; 4-byte Folded Spill
	v_pk_mov_b32 v[62:63], v[6:7], v[6:7] op_sel:[0,1]
	v_mul_f64 v[2:3], v[16:17], v[2:3]
	v_mul_f64 v[4:5], v[28:29], v[2:3]
	buffer_store_dword v4, off, s[20:23], 0 offset:336 ; 4-byte Folded Spill
	s_nop 0
	buffer_store_dword v5, off, s[20:23], 0 offset:340 ; 4-byte Folded Spill
	buffer_load_dword v22, off, s[20:23], 0 offset:2304 ; 4-byte Folded Reload
	buffer_load_dword v23, off, s[20:23], 0 offset:2308 ; 4-byte Folded Reload
	;; [unrolled: 1-line block ×4, first 2 shown]
	v_mul_f64 v[4:5], v[12:13], v[4:5]
	s_waitcnt vmcnt(0)
	v_fmac_f64_e32 v[0:1], v[4:5], v[24:25]
	v_mul_f64 v[4:5], v[30:31], v[2:3]
	v_pk_mov_b32 v[100:101], v[24:25], v[24:25] op_sel:[0,1]
	buffer_store_dword v4, off, s[20:23], 0 offset:320 ; 4-byte Folded Spill
	s_nop 0
	buffer_store_dword v5, off, s[20:23], 0 offset:324 ; 4-byte Folded Spill
	v_pk_mov_b32 v[98:99], v[22:23], v[22:23] op_sel:[0,1]
	buffer_load_dword v22, off, s[20:23], 0 offset:2320 ; 4-byte Folded Reload
	buffer_load_dword v23, off, s[20:23], 0 offset:2324 ; 4-byte Folded Reload
	;; [unrolled: 1-line block ×4, first 2 shown]
	v_mul_f64 v[4:5], v[14:15], v[4:5]
	s_waitcnt vmcnt(0)
	v_fmac_f64_e32 v[0:1], v[4:5], v[24:25]
	v_mul_f64 v[4:5], v[38:39], v[2:3]
	buffer_store_dword v4, off, s[20:23], 0 offset:368 ; 4-byte Folded Spill
	s_nop 0
	buffer_store_dword v5, off, s[20:23], 0 offset:372 ; 4-byte Folded Spill
	buffer_load_dword v122, off, s[20:23], 0 offset:2336 ; 4-byte Folded Reload
	buffer_load_dword v123, off, s[20:23], 0 offset:2340 ; 4-byte Folded Reload
	;; [unrolled: 1-line block ×4, first 2 shown]
	v_accvgpr_write_b32 a53, v25
	v_accvgpr_write_b32 a52, v24
	;; [unrolled: 1-line block ×4, first 2 shown]
	v_mul_f64 v[4:5], v[8:9], v[4:5]
	s_waitcnt vmcnt(0)
	v_fmac_f64_e32 v[0:1], v[4:5], v[124:125]
	v_mul_f64 v[4:5], v[40:41], v[2:3]
	buffer_store_dword v4, off, s[20:23], 0 offset:352 ; 4-byte Folded Spill
	s_nop 0
	buffer_store_dword v5, off, s[20:23], 0 offset:356 ; 4-byte Folded Spill
	buffer_load_dword v22, off, s[20:23], 0 offset:16 ; 4-byte Folded Reload
	buffer_load_dword v23, off, s[20:23], 0 offset:20 ; 4-byte Folded Reload
	;; [unrolled: 1-line block ×4, first 2 shown]
	v_mul_f64 v[2:3], v[104:105], v[2:3]
	buffer_store_dword v2, off, s[20:23], 0 offset:432 ; 4-byte Folded Spill
	s_nop 0
	buffer_store_dword v3, off, s[20:23], 0 offset:436 ; 4-byte Folded Spill
	v_mul_f64 v[4:5], v[10:11], v[4:5]
	s_waitcnt vmcnt(2)
	v_fmac_f64_e32 v[0:1], v[4:5], v[24:25]
	buffer_load_dword v4, off, s[20:23], 0 offset:32 ; 4-byte Folded Reload
	buffer_load_dword v5, off, s[20:23], 0 offset:36 ; 4-byte Folded Reload
	;; [unrolled: 1-line block ×4, first 2 shown]
	v_mul_f64 v[2:3], v[16:17], v[2:3]
	s_waitcnt vmcnt(0)
	v_fmac_f64_e32 v[0:1], v[2:3], v[6:7]
	v_mul_f64 v[2:3], v[18:19], v[20:21]
	v_mul_f64 v[4:5], v[46:47], v[2:3]
	buffer_store_dword v4, off, s[20:23], 0 offset:808 ; 4-byte Folded Spill
	s_nop 0
	buffer_store_dword v5, off, s[20:23], 0 offset:812 ; 4-byte Folded Spill
	v_mul_f64 v[4:5], v[12:13], v[4:5]
	v_mul_f64 v[6:7], v[28:29], v[4:5]
	buffer_store_dword v6, off, s[20:23], 0 offset:400 ; 4-byte Folded Spill
	s_nop 0
	buffer_store_dword v7, off, s[20:23], 0 offset:404 ; 4-byte Folded Spill
	buffer_load_dword v18, off, s[20:23], 0 offset:2352 ; 4-byte Folded Reload
	buffer_load_dword v19, off, s[20:23], 0 offset:2356 ; 4-byte Folded Reload
	;; [unrolled: 1-line block ×4, first 2 shown]
	v_mul_f64 v[6:7], v[12:13], v[6:7]
	s_waitcnt vmcnt(0)
	v_fmac_f64_e32 v[0:1], v[20:21], v[6:7]
	v_mul_f64 v[6:7], v[30:31], v[4:5]
	v_pk_mov_b32 v[108:109], v[20:21], v[20:21] op_sel:[0,1]
	buffer_store_dword v6, off, s[20:23], 0 offset:384 ; 4-byte Folded Spill
	s_nop 0
	buffer_store_dword v7, off, s[20:23], 0 offset:388 ; 4-byte Folded Spill
	v_pk_mov_b32 v[106:107], v[18:19], v[18:19] op_sel:[0,1]
	buffer_load_dword v18, off, s[20:23], 0 offset:48 ; 4-byte Folded Reload
	buffer_load_dword v19, off, s[20:23], 0 offset:52 ; 4-byte Folded Reload
	;; [unrolled: 1-line block ×4, first 2 shown]
	v_mul_f64 v[6:7], v[14:15], v[6:7]
	s_waitcnt vmcnt(0)
	v_fmac_f64_e32 v[0:1], v[20:21], v[6:7]
	v_mul_f64 v[6:7], v[38:39], v[4:5]
	buffer_store_dword v6, off, s[20:23], 0 offset:448 ; 4-byte Folded Spill
	s_nop 0
	buffer_store_dword v7, off, s[20:23], 0 offset:452 ; 4-byte Folded Spill
	buffer_load_dword v18, off, s[20:23], 0 offset:2368 ; 4-byte Folded Reload
	buffer_load_dword v19, off, s[20:23], 0 offset:2372 ; 4-byte Folded Reload
	;; [unrolled: 1-line block ×4, first 2 shown]
	v_mul_f64 v[6:7], v[8:9], v[6:7]
	s_waitcnt vmcnt(0)
	v_fmac_f64_e32 v[0:1], v[20:21], v[6:7]
	v_mul_f64 v[6:7], v[40:41], v[4:5]
	v_accvgpr_write_b32 a45, v21
	buffer_store_dword v6, off, s[20:23], 0 offset:416 ; 4-byte Folded Spill
	s_nop 0
	buffer_store_dword v7, off, s[20:23], 0 offset:420 ; 4-byte Folded Spill
	v_accvgpr_write_b32 a44, v20
	v_accvgpr_write_b32 a43, v19
	;; [unrolled: 1-line block ×3, first 2 shown]
	buffer_load_dword v18, off, s[20:23], 0 offset:2384 ; 4-byte Folded Reload
	buffer_load_dword v19, off, s[20:23], 0 offset:2388 ; 4-byte Folded Reload
	;; [unrolled: 1-line block ×4, first 2 shown]
	v_mul_f64 v[4:5], v[104:105], v[4:5]
	buffer_store_dword v4, off, s[20:23], 0 offset:464 ; 4-byte Folded Spill
	s_nop 0
	buffer_store_dword v5, off, s[20:23], 0 offset:468 ; 4-byte Folded Spill
	v_mul_f64 v[6:7], v[10:11], v[6:7]
	s_waitcnt vmcnt(2)
	v_accvgpr_write_b32 a145, v21
	v_fmac_f64_e32 v[0:1], v[20:21], v[6:7]
	v_accvgpr_write_b32 a144, v20
	v_accvgpr_write_b32 a143, v19
	v_accvgpr_write_b32 a142, v18
	buffer_load_dword v18, off, s[20:23], 0 offset:2400 ; 4-byte Folded Reload
	buffer_load_dword v19, off, s[20:23], 0 offset:2404 ; 4-byte Folded Reload
	;; [unrolled: 1-line block ×4, first 2 shown]
	v_mul_f64 v[4:5], v[16:17], v[4:5]
	s_waitcnt vmcnt(0)
	v_fmac_f64_e32 v[0:1], v[4:5], v[20:21]
	v_mul_f64 v[4:5], v[48:49], v[2:3]
	buffer_store_dword v4, off, s[20:23], 0 offset:824 ; 4-byte Folded Spill
	s_nop 0
	buffer_store_dword v5, off, s[20:23], 0 offset:828 ; 4-byte Folded Spill
	v_accvgpr_write_b32 a0, v18
	v_accvgpr_write_b32 a1, v19
	;; [unrolled: 1-line block ×4, first 2 shown]
	v_mul_f64 v[4:5], v[14:15], v[4:5]
	v_mul_f64 v[6:7], v[28:29], v[4:5]
	buffer_store_dword v6, off, s[20:23], 0 offset:480 ; 4-byte Folded Spill
	s_nop 0
	buffer_store_dword v7, off, s[20:23], 0 offset:484 ; 4-byte Folded Spill
	buffer_load_dword v18, off, s[20:23], 0 offset:2416 ; 4-byte Folded Reload
	buffer_load_dword v19, off, s[20:23], 0 offset:2420 ; 4-byte Folded Reload
	;; [unrolled: 1-line block ×4, first 2 shown]
	v_mul_f64 v[164:165], v[40:41], v[4:5]
	v_mul_f64 v[6:7], v[12:13], v[6:7]
	s_waitcnt vmcnt(0)
	v_fmac_f64_e32 v[0:1], v[6:7], v[20:21]
	v_mul_f64 v[6:7], v[30:31], v[4:5]
	buffer_store_dword v6, off, s[20:23], 0 offset:496 ; 4-byte Folded Spill
	s_nop 0
	buffer_store_dword v7, off, s[20:23], 0 offset:500 ; 4-byte Folded Spill
	buffer_load_dword v118, off, s[20:23], 0 offset:2432 ; 4-byte Folded Reload
	buffer_load_dword v119, off, s[20:23], 0 offset:2436 ; 4-byte Folded Reload
	;; [unrolled: 1-line block ×4, first 2 shown]
	v_pk_mov_b32 v[116:117], v[20:21], v[20:21] op_sel:[0,1]
	v_pk_mov_b32 v[114:115], v[18:19], v[18:19] op_sel:[0,1]
	v_accvgpr_write_b32 a114, v114
	v_accvgpr_write_b32 a115, v115
	;; [unrolled: 1-line block ×4, first 2 shown]
	v_mul_f64 v[6:7], v[14:15], v[6:7]
	s_waitcnt vmcnt(0)
	v_fmac_f64_e32 v[0:1], v[6:7], v[120:121]
	v_mul_f64 v[6:7], v[38:39], v[4:5]
	buffer_store_dword v6, off, s[20:23], 0 offset:512 ; 4-byte Folded Spill
	s_nop 0
	buffer_store_dword v7, off, s[20:23], 0 offset:516 ; 4-byte Folded Spill
	buffer_load_dword v18, off, s[20:23], 0 offset:2448 ; 4-byte Folded Reload
	buffer_load_dword v19, off, s[20:23], 0 offset:2452 ; 4-byte Folded Reload
	;; [unrolled: 1-line block ×4, first 2 shown]
	v_mul_f64 v[6:7], v[8:9], v[6:7]
	s_waitcnt vmcnt(0)
	v_fmac_f64_e32 v[0:1], v[6:7], v[20:21]
	v_mul_f64 v[6:7], v[10:11], v[164:165]
	buffer_store_dword v164, off, s[20:23], 0 offset:1704 ; 4-byte Folded Spill
	s_nop 0
	buffer_store_dword v165, off, s[20:23], 0 offset:1708 ; 4-byte Folded Spill
	buffer_load_dword v170, off, s[20:23], 0 offset:2464 ; 4-byte Folded Reload
	buffer_load_dword v171, off, s[20:23], 0 offset:2468 ; 4-byte Folded Reload
	;; [unrolled: 1-line block ×4, first 2 shown]
	v_accvgpr_write_b32 a159, v21
	v_accvgpr_write_b32 a158, v20
	;; [unrolled: 1-line block ×4, first 2 shown]
	v_pk_mov_b32 v[20:21], v[50:51], v[50:51] op_sel:[0,1]
	v_pk_mov_b32 v[22:23], v[52:53], v[52:53] op_sel:[0,1]
	s_waitcnt vmcnt(0)
	v_fmac_f64_e32 v[0:1], v[6:7], v[172:173]
	v_mul_f64 v[6:7], v[104:105], v[4:5]
	v_accvgpr_write_b32 a57, v7
	v_accvgpr_write_b32 a56, v6
	buffer_store_dword a56, off, s[20:23], 0 offset:1688 ; 4-byte Folded Spill
	s_nop 0
	buffer_store_dword a57, off, s[20:23], 0 offset:1692 ; 4-byte Folded Spill
	buffer_load_dword v46, off, s[20:23], 0 offset:568 ; 4-byte Folded Reload
	buffer_load_dword v47, off, s[20:23], 0 offset:572 ; 4-byte Folded Reload
	;; [unrolled: 1-line block ×4, first 2 shown]
	v_mul_f64 v[4:5], v[16:17], v[6:7]
	s_waitcnt vmcnt(2)
	v_fmac_f64_e32 v[0:1], v[4:5], v[46:47]
	v_mul_f64 v[4:5], v[20:21], v[2:3]
	buffer_store_dword v4, off, s[20:23], 0 offset:760 ; 4-byte Folded Spill
	s_nop 0
	buffer_store_dword v5, off, s[20:23], 0 offset:764 ; 4-byte Folded Spill
	v_mul_f64 v[4:5], v[8:9], v[4:5]
	v_mul_f64 v[18:19], v[28:29], v[4:5]
	v_pk_mov_b32 v[134:135], v[18:19], v[18:19] op_sel:[0,1]
	buffer_store_dword v134, off, s[20:23], 0 offset:1720 ; 4-byte Folded Spill
	s_nop 0
	buffer_store_dword v135, off, s[20:23], 0 offset:1724 ; 4-byte Folded Spill
	buffer_load_dword v50, off, s[20:23], 0 offset:584 ; 4-byte Folded Reload
	buffer_load_dword v51, off, s[20:23], 0 offset:588 ; 4-byte Folded Reload
	;; [unrolled: 1-line block ×8, first 2 shown]
	v_mul_f64 v[6:7], v[12:13], v[18:19]
	v_mul_f64 v[18:19], v[30:31], v[4:5]
	v_accvgpr_write_b32 a141, v19
	s_waitcnt vmcnt(12)
	v_fmac_f64_e32 v[0:1], v[6:7], v[48:49]
	v_mul_f64 v[6:7], v[14:15], v[18:19]
	v_accvgpr_write_b32 a140, v18
	v_mul_f64 v[18:19], v[38:39], v[4:5]
	v_accvgpr_write_b32 a147, v19
	v_accvgpr_write_b32 a146, v18
	s_waitcnt vmcnt(6)
	v_fmac_f64_e32 v[0:1], v[6:7], v[50:51]
	v_mul_f64 v[6:7], v[8:9], v[18:19]
	v_mul_f64 v[18:19], v[40:41], v[4:5]
	s_waitcnt vmcnt(4)
	v_fmac_f64_e32 v[0:1], v[6:7], v[52:53]
	v_mul_f64 v[6:7], v[10:11], v[18:19]
	s_waitcnt vmcnt(2)
	v_fmac_f64_e32 v[0:1], v[6:7], v[58:59]
	v_mul_f64 v[6:7], v[104:105], v[4:5]
	v_mul_f64 v[4:5], v[16:17], v[6:7]
	s_waitcnt vmcnt(0)
	v_fmac_f64_e32 v[0:1], v[4:5], v[60:61]
	v_mul_f64 v[4:5], v[22:23], v[2:3]
	buffer_store_dword v4, off, s[20:23], 0 offset:712 ; 4-byte Folded Spill
	s_nop 0
	buffer_store_dword v5, off, s[20:23], 0 offset:716 ; 4-byte Folded Spill
	buffer_load_dword v190, off, s[20:23], 0 offset:616 ; 4-byte Folded Reload
	buffer_load_dword v191, off, s[20:23], 0 offset:620 ; 4-byte Folded Reload
	buffer_load_dword v192, off, s[20:23], 0 offset:624 ; 4-byte Folded Reload
	buffer_load_dword v193, off, s[20:23], 0 offset:628 ; 4-byte Folded Reload
	buffer_load_dword v194, off, s[20:23], 0 offset:632 ; 4-byte Folded Reload
	buffer_load_dword v195, off, s[20:23], 0 offset:636 ; 4-byte Folded Reload
	buffer_load_dword v196, off, s[20:23], 0 offset:640 ; 4-byte Folded Reload
	buffer_load_dword v197, off, s[20:23], 0 offset:644 ; 4-byte Folded Reload
	v_accvgpr_write_b32 a169, v19
	v_mul_f64 v[2:3], v[62:63], v[2:3]
	v_accvgpr_write_b32 a168, v18
	buffer_load_dword v206, off, s[20:23], 0 offset:648 ; 4-byte Folded Reload
	buffer_load_dword v207, off, s[20:23], 0 offset:652 ; 4-byte Folded Reload
	;; [unrolled: 1-line block ×4, first 2 shown]
	s_nop 0
	buffer_store_dword v2, off, s[20:23], 0 offset:680 ; 4-byte Folded Spill
	s_nop 0
	buffer_store_dword v3, off, s[20:23], 0 offset:684 ; 4-byte Folded Spill
	v_accvgpr_write_b32 a171, v7
	v_accvgpr_write_b32 a170, v6
	buffer_load_dword v210, off, s[20:23], 0 offset:664 ; 4-byte Folded Reload
	buffer_load_dword v211, off, s[20:23], 0 offset:668 ; 4-byte Folded Reload
	buffer_load_dword v212, off, s[20:23], 0 offset:672 ; 4-byte Folded Reload
	buffer_load_dword v213, off, s[20:23], 0 offset:676 ; 4-byte Folded Reload
	v_pk_mov_b32 v[24:25], v[22:23], v[22:23] op_sel:[0,1]
	v_pk_mov_b32 v[22:23], v[20:21], v[20:21] op_sel:[0,1]
	v_mul_f64 v[4:5], v[10:11], v[4:5]
	v_mul_f64 v[18:19], v[28:29], v[4:5]
	v_accvgpr_write_b32 a173, v19
	v_mul_f64 v[6:7], v[12:13], v[18:19]
	v_accvgpr_write_b32 a172, v18
	;; [unrolled: 2-line block ×3, first 2 shown]
	s_waitcnt vmcnt(16)
	v_fmac_f64_e32 v[0:1], v[6:7], v[190:191]
	v_mul_f64 v[6:7], v[14:15], v[18:19]
	v_accvgpr_write_b32 a174, v18
	v_mul_f64 v[18:19], v[38:39], v[4:5]
	v_accvgpr_write_b32 a177, v19
	s_waitcnt vmcnt(14)
	v_fmac_f64_e32 v[0:1], v[6:7], v[192:193]
	v_mul_f64 v[6:7], v[8:9], v[18:19]
	v_accvgpr_write_b32 a176, v18
	v_mul_f64 v[18:19], v[40:41], v[4:5]
	v_accvgpr_write_b32 a179, v19
	s_waitcnt vmcnt(12)
	v_fmac_f64_e32 v[0:1], v[6:7], v[194:195]
	v_mul_f64 v[6:7], v[10:11], v[18:19]
	v_accvgpr_write_b32 a178, v18
	buffer_load_dword v18, off, s[20:23], 0 offset:2480 ; 4-byte Folded Reload
	buffer_load_dword v19, off, s[20:23], 0 offset:2484 ; 4-byte Folded Reload
	;; [unrolled: 1-line block ×4, first 2 shown]
	s_waitcnt vmcnt(14)
	v_fmac_f64_e32 v[0:1], v[6:7], v[196:197]
	v_mul_f64 v[6:7], v[104:105], v[4:5]
	v_accvgpr_write_b32 a181, v7
	v_mul_f64 v[2:3], v[16:17], v[2:3]
	v_mul_f64 v[4:5], v[16:17], v[6:7]
	v_accvgpr_write_b32 a180, v6
	v_mul_f64 v[6:7], v[28:29], v[2:3]
	v_accvgpr_write_b32 a183, v7
	s_waitcnt vmcnt(12)
	v_fmac_f64_e32 v[0:1], v[4:5], v[206:207]
	v_mul_f64 v[4:5], v[12:13], v[6:7]
	v_accvgpr_write_b32 a182, v6
	v_mul_f64 v[6:7], v[30:31], v[2:3]
	v_accvgpr_write_b32 a185, v7
	s_waitcnt vmcnt(10)
	v_fmac_f64_e32 v[0:1], v[4:5], v[208:209]
	;; [unrolled: 6-line block ×3, first 2 shown]
	v_mul_f64 v[4:5], v[8:9], v[6:7]
	v_accvgpr_write_b32 a186, v6
	v_mul_f64 v[6:7], v[40:41], v[2:3]
	s_waitcnt vmcnt(4)
	v_fmac_f64_e32 v[0:1], v[4:5], v[212:213]
	v_mul_f64 v[4:5], v[10:11], v[6:7]
	v_accvgpr_write_b32 a189, v7
	v_accvgpr_write_b32 a188, v6
	s_waitcnt vmcnt(2)
	v_fmac_f64_e32 v[0:1], v[4:5], v[18:19]
	v_mul_f64 v[4:5], v[104:105], v[2:3]
	v_mul_f64 v[2:3], v[16:17], v[4:5]
	v_accvgpr_write_b32 a191, v5
	v_accvgpr_write_b32 a190, v4
	s_waitcnt vmcnt(0)
	v_fmac_f64_e32 v[0:1], v[2:3], v[20:21]
	ds_read2_b64 v[2:5], v255 offset0:4 offset1:8
	v_accvgpr_write_b32 a195, v21
	s_waitcnt lgkmcnt(0)
	buffer_store_dword v2, off, s[20:23], 0 offset:64 ; 4-byte Folded Spill
	s_nop 0
	buffer_store_dword v3, off, s[20:23], 0 offset:68 ; 4-byte Folded Spill
	buffer_store_dword v4, off, s[20:23], 0 offset:72 ; 4-byte Folded Spill
	;; [unrolled: 1-line block ×3, first 2 shown]
	v_accvgpr_write_b32 a194, v20
	v_accvgpr_write_b32 a193, v19
	;; [unrolled: 1-line block ×3, first 2 shown]
	buffer_load_dword v18, off, s[20:23], 0 offset:2012 ; 4-byte Folded Reload
	buffer_load_dword v19, off, s[20:23], 0 offset:2016 ; 4-byte Folded Reload
	;; [unrolled: 1-line block ×4, first 2 shown]
	v_accvgpr_mov_b32 a164, a192
	v_accvgpr_mov_b32 a165, a193
	;; [unrolled: 1-line block ×4, first 2 shown]
	s_waitcnt vmcnt(2)
	v_mul_f64 v[2:3], v[18:19], v[4:5]
	v_mul_f64 v[4:5], v[136:137], v[2:3]
	;; [unrolled: 1-line block ×4, first 2 shown]
	buffer_store_dword v6, off, s[20:23], 0 offset:840 ; 4-byte Folded Spill
	s_nop 0
	buffer_store_dword v7, off, s[20:23], 0 offset:844 ; 4-byte Folded Spill
	buffer_load_dword v160, off, s[20:23], 0 offset:2496 ; 4-byte Folded Reload
	buffer_load_dword v161, off, s[20:23], 0 offset:2500 ; 4-byte Folded Reload
	;; [unrolled: 1-line block ×4, first 2 shown]
	v_mul_f64 v[6:7], v[12:13], v[6:7]
	s_waitcnt vmcnt(2)
	v_fmac_f64_e32 v[0:1], v[160:161], v[6:7]
	v_mul_f64 v[6:7], v[30:31], v[4:5]
	buffer_store_dword v6, off, s[20:23], 0 offset:856 ; 4-byte Folded Spill
	s_nop 0
	buffer_store_dword v7, off, s[20:23], 0 offset:860 ; 4-byte Folded Spill
	s_waitcnt vmcnt(2)
	v_accvgpr_write_b32 a201, v163
	v_accvgpr_write_b32 a200, v162
	;; [unrolled: 1-line block ×4, first 2 shown]
	v_accvgpr_mov_b32 a136, a198
	v_accvgpr_mov_b32 a137, a199
	;; [unrolled: 1-line block ×4, first 2 shown]
	v_mul_f64 v[6:7], v[14:15], v[6:7]
	v_fmac_f64_e32 v[0:1], v[162:163], v[6:7]
	v_mul_f64 v[6:7], v[38:39], v[4:5]
	buffer_store_dword v6, off, s[20:23], 0 offset:904 ; 4-byte Folded Spill
	s_nop 0
	buffer_store_dword v7, off, s[20:23], 0 offset:908 ; 4-byte Folded Spill
	buffer_load_dword v214, off, s[20:23], 0 offset:2512 ; 4-byte Folded Reload
	buffer_load_dword v215, off, s[20:23], 0 offset:2516 ; 4-byte Folded Reload
	;; [unrolled: 1-line block ×4, first 2 shown]
	v_mul_f64 v[6:7], v[8:9], v[6:7]
	s_waitcnt vmcnt(2)
	v_fmac_f64_e32 v[0:1], v[214:215], v[6:7]
	v_mul_f64 v[6:7], v[40:41], v[4:5]
	v_mul_f64 v[4:5], v[104:105], v[4:5]
	buffer_store_dword v6, off, s[20:23], 0 offset:888 ; 4-byte Folded Spill
	s_nop 0
	buffer_store_dword v7, off, s[20:23], 0 offset:892 ; 4-byte Folded Spill
	buffer_store_dword v4, off, s[20:23], 0 offset:872 ; 4-byte Folded Spill
	s_nop 0
	buffer_store_dword v5, off, s[20:23], 0 offset:876 ; 4-byte Folded Spill
	buffer_load_dword v238, off, s[20:23], 0 offset:2528 ; 4-byte Folded Reload
	buffer_load_dword v239, off, s[20:23], 0 offset:2532 ; 4-byte Folded Reload
	;; [unrolled: 1-line block ×12, first 2 shown]
	s_waitcnt vmcnt(16)
	v_accvgpr_write_b32 a132, v214
	v_accvgpr_write_b32 a133, v215
	;; [unrolled: 1-line block ×4, first 2 shown]
	v_mul_f64 v[6:7], v[10:11], v[6:7]
	v_fmac_f64_e32 v[0:1], v[216:217], v[6:7]
	v_mul_f64 v[4:5], v[16:17], v[4:5]
	s_waitcnt vmcnt(10)
	v_fmac_f64_e32 v[0:1], v[4:5], v[238:239]
	v_mul_f64 v[4:5], v[138:139], v[2:3]
	v_mul_f64 v[4:5], v[14:15], v[4:5]
	;; [unrolled: 1-line block ×3, first 2 shown]
	v_accvgpr_write_b32 a203, v19
	v_mul_f64 v[6:7], v[12:13], v[18:19]
	v_accvgpr_write_b32 a202, v18
	v_mul_f64 v[18:19], v[30:31], v[4:5]
	v_accvgpr_write_b32 a205, v19
	s_waitcnt vmcnt(8)
	v_fmac_f64_e32 v[0:1], v[6:7], v[240:241]
	v_mul_f64 v[6:7], v[14:15], v[18:19]
	v_accvgpr_write_b32 a204, v18
	v_mul_f64 v[18:19], v[38:39], v[4:5]
	v_accvgpr_write_b32 a207, v19
	s_waitcnt vmcnt(6)
	v_fmac_f64_e32 v[0:1], v[6:7], v[246:247]
	v_mul_f64 v[6:7], v[8:9], v[18:19]
	v_accvgpr_write_b32 a206, v18
	v_mul_f64 v[18:19], v[40:41], v[4:5]
	v_mul_f64 v[4:5], v[104:105], v[4:5]
	buffer_store_dword v4, off, s[20:23], 0 offset:1304 ; 4-byte Folded Spill
	s_nop 0
	buffer_store_dword v5, off, s[20:23], 0 offset:1308 ; 4-byte Folded Spill
	s_waitcnt vmcnt(6)
	v_fmac_f64_e32 v[0:1], v[6:7], v[248:249]
	v_mul_f64 v[6:7], v[10:11], v[18:19]
	s_waitcnt vmcnt(4)
	v_fmac_f64_e32 v[0:1], v[6:7], v[150:151]
	v_accvgpr_write_b32 a209, v19
	v_accvgpr_write_b32 a208, v18
	s_waitcnt vmcnt(2)
	v_accvgpr_write_b32 a213, v153
	v_accvgpr_write_b32 a212, v152
	v_accvgpr_write_b32 a211, v151
	v_accvgpr_write_b32 a210, v150
	v_accvgpr_write_b32 a124, v238
	v_accvgpr_write_b32 a125, v239
	v_accvgpr_write_b32 a126, v240
	v_accvgpr_write_b32 a127, v241
	v_mul_f64 v[4:5], v[16:17], v[4:5]
	v_fmac_f64_e32 v[0:1], v[4:5], v[152:153]
	v_mul_f64 v[4:5], v[22:23], v[2:3]
	v_mul_f64 v[4:5], v[8:9], v[4:5]
	;; [unrolled: 1-line block ×3, first 2 shown]
	buffer_store_dword v6, off, s[20:23], 0 offset:1208 ; 4-byte Folded Spill
	s_nop 0
	buffer_store_dword v7, off, s[20:23], 0 offset:1212 ; 4-byte Folded Spill
	buffer_load_dword v146, off, s[20:23], 0 offset:2576 ; 4-byte Folded Reload
	buffer_load_dword v147, off, s[20:23], 0 offset:2580 ; 4-byte Folded Reload
	;; [unrolled: 1-line block ×8, first 2 shown]
	v_mul_f64 v[18:19], v[30:31], v[4:5]
	v_accvgpr_write_b32 a215, v19
	v_accvgpr_write_b32 a214, v18
	v_mul_f64 v[6:7], v[12:13], v[6:7]
	s_waitcnt vmcnt(6)
	v_fmac_f64_e32 v[0:1], v[6:7], v[146:147]
	v_mul_f64 v[6:7], v[14:15], v[18:19]
	v_mul_f64 v[18:19], v[38:39], v[4:5]
	s_waitcnt vmcnt(4)
	v_fmac_f64_e32 v[0:1], v[6:7], v[148:149]
	v_mul_f64 v[6:7], v[8:9], v[18:19]
	s_waitcnt vmcnt(2)
	v_fmac_f64_e32 v[0:1], v[6:7], v[140:141]
	v_mul_f64 v[6:7], v[40:41], v[4:5]
	buffer_store_dword v6, off, s[20:23], 0 offset:1320 ; 4-byte Folded Spill
	s_nop 0
	buffer_store_dword v7, off, s[20:23], 0 offset:1324 ; 4-byte Folded Spill
	v_mul_f64 v[4:5], v[104:105], v[4:5]
	s_waitcnt vmcnt(2)
	v_accvgpr_write_b32 a221, v143
	buffer_store_dword v4, off, s[20:23], 0 offset:1224 ; 4-byte Folded Spill
	s_nop 0
	buffer_store_dword v5, off, s[20:23], 0 offset:1228 ; 4-byte Folded Spill
	v_accvgpr_write_b32 a220, v142
	v_accvgpr_write_b32 a219, v141
	;; [unrolled: 1-line block ×9, first 2 shown]
	v_mul_f64 v[6:7], v[10:11], v[6:7]
	v_fmac_f64_e32 v[0:1], v[6:7], v[142:143]
	buffer_load_dword v140, off, s[20:23], 0 offset:2608 ; 4-byte Folded Reload
	buffer_load_dword v141, off, s[20:23], 0 offset:2612 ; 4-byte Folded Reload
	;; [unrolled: 1-line block ×4, first 2 shown]
	v_mul_f64 v[4:5], v[16:17], v[4:5]
	s_waitcnt vmcnt(2)
	v_fmac_f64_e32 v[0:1], v[4:5], v[140:141]
	v_mul_f64 v[4:5], v[24:25], v[2:3]
	v_mul_f64 v[4:5], v[10:11], v[4:5]
	;; [unrolled: 1-line block ×3, first 2 shown]
	buffer_store_dword v6, off, s[20:23], 0 offset:1112 ; 4-byte Folded Spill
	s_nop 0
	buffer_store_dword v7, off, s[20:23], 0 offset:1116 ; 4-byte Folded Spill
	v_mul_f64 v[18:19], v[38:39], v[4:5]
	v_accvgpr_write_b32 a227, v19
	v_accvgpr_write_b32 a226, v18
	v_mul_f64 v[2:3], v[62:63], v[2:3]
	v_mul_f64 v[2:3], v[16:17], v[2:3]
	s_waitcnt vmcnt(2)
	v_accvgpr_write_b32 a225, v143
	v_accvgpr_write_b32 a224, v142
	;; [unrolled: 1-line block ×4, first 2 shown]
	v_mul_f64 v[6:7], v[12:13], v[6:7]
	v_fmac_f64_e32 v[0:1], v[6:7], v[142:143]
	v_mul_f64 v[6:7], v[30:31], v[4:5]
	buffer_store_dword v6, off, s[20:23], 0 offset:1064 ; 4-byte Folded Spill
	s_nop 0
	buffer_store_dword v7, off, s[20:23], 0 offset:1068 ; 4-byte Folded Spill
	buffer_load_dword v160, off, s[20:23], 0 offset:2624 ; 4-byte Folded Reload
	buffer_load_dword v161, off, s[20:23], 0 offset:2628 ; 4-byte Folded Reload
	;; [unrolled: 1-line block ×8, first 2 shown]
	v_mul_f64 v[6:7], v[14:15], v[6:7]
	s_waitcnt vmcnt(6)
	v_fmac_f64_e32 v[0:1], v[6:7], v[160:161]
	v_mul_f64 v[6:7], v[8:9], v[18:19]
	v_mul_f64 v[18:19], v[40:41], v[4:5]
	;; [unrolled: 1-line block ×3, first 2 shown]
	buffer_store_dword v4, off, s[20:23], 0 offset:1128 ; 4-byte Folded Spill
	s_nop 0
	buffer_store_dword v5, off, s[20:23], 0 offset:1132 ; 4-byte Folded Spill
	s_waitcnt vmcnt(6)
	v_fmac_f64_e32 v[0:1], v[6:7], v[162:163]
	v_mul_f64 v[6:7], v[10:11], v[18:19]
	s_waitcnt vmcnt(4)
	v_fmac_f64_e32 v[0:1], v[6:7], v[144:145]
	v_accvgpr_write_b32 a229, v19
	v_accvgpr_write_b32 a228, v18
	s_waitcnt vmcnt(2)
	v_accvgpr_write_b32 a233, v147
	v_accvgpr_write_b32 a232, v146
	;; [unrolled: 1-line block ×4, first 2 shown]
	v_mul_f64 v[4:5], v[16:17], v[4:5]
	v_fmac_f64_e32 v[0:1], v[4:5], v[146:147]
	v_mul_f64 v[4:5], v[28:29], v[2:3]
	buffer_store_dword v4, off, s[20:23], 0 offset:1032 ; 4-byte Folded Spill
	s_nop 0
	buffer_store_dword v5, off, s[20:23], 0 offset:1036 ; 4-byte Folded Spill
	buffer_load_dword v140, off, s[20:23], 0 offset:2660 ; 4-byte Folded Reload
	buffer_load_dword v141, off, s[20:23], 0 offset:2664 ; 4-byte Folded Reload
	;; [unrolled: 1-line block ×4, first 2 shown]
	v_mul_f64 v[4:5], v[12:13], v[4:5]
	s_waitcnt vmcnt(2)
	v_fmac_f64_e32 v[0:1], v[4:5], v[140:141]
	v_mul_f64 v[4:5], v[30:31], v[2:3]
	buffer_store_dword v4, off, s[20:23], 0 offset:1048 ; 4-byte Folded Spill
	s_nop 0
	buffer_store_dword v5, off, s[20:23], 0 offset:1052 ; 4-byte Folded Spill
	s_waitcnt vmcnt(2)
	v_accvgpr_write_b32 a237, v143
	v_accvgpr_write_b32 a236, v142
	;; [unrolled: 1-line block ×4, first 2 shown]
	v_mul_f64 v[4:5], v[14:15], v[4:5]
	v_fmac_f64_e32 v[0:1], v[4:5], v[142:143]
	v_mul_f64 v[4:5], v[38:39], v[2:3]
	buffer_store_dword v4, off, s[20:23], 0 offset:1000 ; 4-byte Folded Spill
	s_nop 0
	buffer_store_dword v5, off, s[20:23], 0 offset:1004 ; 4-byte Folded Spill
	buffer_load_dword v140, off, s[20:23], 0 offset:2676 ; 4-byte Folded Reload
	buffer_load_dword v141, off, s[20:23], 0 offset:2680 ; 4-byte Folded Reload
	;; [unrolled: 1-line block ×4, first 2 shown]
	v_mul_f64 v[4:5], v[8:9], v[4:5]
	s_waitcnt vmcnt(2)
	v_fmac_f64_e32 v[0:1], v[4:5], v[140:141]
	v_mul_f64 v[4:5], v[40:41], v[2:3]
	buffer_store_dword v4, off, s[20:23], 0 offset:1176 ; 4-byte Folded Spill
	s_nop 0
	buffer_store_dword v5, off, s[20:23], 0 offset:1180 ; 4-byte Folded Spill
	v_mul_f64 v[2:3], v[104:105], v[2:3]
	s_waitcnt vmcnt(2)
	v_accvgpr_write_b32 a241, v143
	buffer_store_dword v2, off, s[20:23], 0 offset:1016 ; 4-byte Folded Spill
	s_nop 0
	buffer_store_dword v3, off, s[20:23], 0 offset:1020 ; 4-byte Folded Spill
	v_accvgpr_write_b32 a240, v142
	v_accvgpr_write_b32 a239, v141
	;; [unrolled: 1-line block ×3, first 2 shown]
	v_mul_f64 v[4:5], v[10:11], v[4:5]
	v_fmac_f64_e32 v[0:1], v[4:5], v[142:143]
	buffer_load_dword v140, off, s[20:23], 0 offset:2692 ; 4-byte Folded Reload
	buffer_load_dword v141, off, s[20:23], 0 offset:2696 ; 4-byte Folded Reload
	;; [unrolled: 1-line block ×4, first 2 shown]
	v_mul_f64 v[2:3], v[16:17], v[2:3]
	s_waitcnt vmcnt(2)
	v_fmac_f64_e32 v[0:1], v[2:3], v[140:141]
	ds_read2_b64 v[2:5], v255 offset0:8 offset1:12
	s_waitcnt lgkmcnt(0)
	buffer_store_dword v2, off, s[20:23], 0 offset:1752 ; 4-byte Folded Spill
	s_nop 0
	buffer_store_dword v3, off, s[20:23], 0 offset:1756 ; 4-byte Folded Spill
	buffer_store_dword v4, off, s[20:23], 0 offset:1760 ; 4-byte Folded Spill
	;; [unrolled: 1-line block ×3, first 2 shown]
	s_waitcnt vmcnt(4)
	v_accvgpr_write_b32 a245, v143
	v_accvgpr_write_b32 a244, v142
	;; [unrolled: 1-line block ×4, first 2 shown]
	v_mul_f64 v[2:3], v[20:21], v[4:5]
	v_mul_f64 v[4:5], v[136:137], v[2:3]
	;; [unrolled: 1-line block ×4, first 2 shown]
	buffer_store_dword v6, off, s[20:23], 0 offset:952 ; 4-byte Folded Spill
	s_nop 0
	buffer_store_dword v7, off, s[20:23], 0 offset:956 ; 4-byte Folded Spill
	v_mul_f64 v[18:19], v[38:39], v[4:5]
	v_mul_f64 v[144:145], v[40:41], v[4:5]
	v_accvgpr_write_b32 a247, v19
	v_accvgpr_write_b32 a246, v18
	v_mul_f64 v[6:7], v[12:13], v[6:7]
	v_fmac_f64_e32 v[0:1], v[142:143], v[6:7]
	v_mul_f64 v[6:7], v[30:31], v[4:5]
	buffer_store_dword v6, off, s[20:23], 0 offset:968 ; 4-byte Folded Spill
	s_nop 0
	buffer_store_dword v7, off, s[20:23], 0 offset:972 ; 4-byte Folded Spill
	buffer_load_dword v140, off, s[20:23], 0 offset:2708 ; 4-byte Folded Reload
	buffer_load_dword v141, off, s[20:23], 0 offset:2712 ; 4-byte Folded Reload
	;; [unrolled: 1-line block ×4, first 2 shown]
	v_mul_f64 v[4:5], v[104:105], v[4:5]
	v_mul_f64 v[6:7], v[14:15], v[6:7]
	s_waitcnt vmcnt(2)
	v_fmac_f64_e32 v[0:1], v[140:141], v[6:7]
	v_mul_f64 v[6:7], v[8:9], v[18:19]
	s_waitcnt vmcnt(0)
	v_accvgpr_write_b32 a253, v143
	v_fmac_f64_e32 v[0:1], v[142:143], v[6:7]
	v_accvgpr_write_b32 a252, v142
	v_accvgpr_write_b32 a251, v141
	;; [unrolled: 1-line block ×3, first 2 shown]
	buffer_load_dword v140, off, s[20:23], 0 offset:2724 ; 4-byte Folded Reload
	buffer_load_dword v141, off, s[20:23], 0 offset:2728 ; 4-byte Folded Reload
	;; [unrolled: 1-line block ×4, first 2 shown]
	s_nop 0
	buffer_store_dword v4, off, s[20:23], 0 offset:920 ; 4-byte Folded Spill
	s_nop 0
	buffer_store_dword v5, off, s[20:23], 0 offset:924 ; 4-byte Folded Spill
	v_mul_f64 v[6:7], v[10:11], v[144:145]
	s_waitcnt vmcnt(4)
	v_fmac_f64_e32 v[0:1], v[140:141], v[6:7]
	v_mul_f64 v[4:5], v[16:17], v[4:5]
	s_waitcnt vmcnt(2)
	v_fmac_f64_e32 v[0:1], v[4:5], v[142:143]
	v_mul_f64 v[4:5], v[138:139], v[2:3]
	v_mul_f64 v[4:5], v[14:15], v[4:5]
	v_mul_f64 v[6:7], v[28:29], v[4:5]
	buffer_store_dword v6, off, s[20:23], 0 offset:936 ; 4-byte Folded Spill
	s_nop 0
	buffer_store_dword v7, off, s[20:23], 0 offset:940 ; 4-byte Folded Spill
	buffer_load_dword v146, off, s[20:23], 0 offset:2740 ; 4-byte Folded Reload
	buffer_load_dword v147, off, s[20:23], 0 offset:2744 ; 4-byte Folded Reload
	;; [unrolled: 1-line block ×4, first 2 shown]
	v_mul_f64 v[6:7], v[12:13], v[6:7]
	s_waitcnt vmcnt(2)
	v_fmac_f64_e32 v[0:1], v[6:7], v[146:147]
	v_mul_f64 v[6:7], v[30:31], v[4:5]
	buffer_store_dword v6, off, s[20:23], 0 offset:1192 ; 4-byte Folded Spill
	s_nop 0
	buffer_store_dword v7, off, s[20:23], 0 offset:1196 ; 4-byte Folded Spill
	s_waitcnt vmcnt(2)
	v_accvgpr_write_b32 a108, v146
	v_accvgpr_write_b32 a109, v147
	;; [unrolled: 1-line block ×4, first 2 shown]
	v_mul_f64 v[6:7], v[14:15], v[6:7]
	v_fmac_f64_e32 v[0:1], v[6:7], v[148:149]
	v_mul_f64 v[6:7], v[38:39], v[4:5]
	buffer_store_dword v6, off, s[20:23], 0 offset:984 ; 4-byte Folded Spill
	s_nop 0
	buffer_store_dword v7, off, s[20:23], 0 offset:988 ; 4-byte Folded Spill
	buffer_load_dword v146, off, s[20:23], 0 offset:2756 ; 4-byte Folded Reload
	buffer_load_dword v147, off, s[20:23], 0 offset:2760 ; 4-byte Folded Reload
	;; [unrolled: 1-line block ×4, first 2 shown]
	v_mul_f64 v[6:7], v[8:9], v[6:7]
	s_waitcnt vmcnt(2)
	v_fmac_f64_e32 v[0:1], v[6:7], v[146:147]
	v_mul_f64 v[6:7], v[40:41], v[4:5]
	buffer_store_dword v6, off, s[20:23], 0 offset:1144 ; 4-byte Folded Spill
	s_nop 0
	buffer_store_dword v7, off, s[20:23], 0 offset:1148 ; 4-byte Folded Spill
	v_mul_f64 v[4:5], v[104:105], v[4:5]
	s_waitcnt vmcnt(2)
	v_accvgpr_write_b32 a8, v146
	buffer_store_dword v4, off, s[20:23], 0 offset:1160 ; 4-byte Folded Spill
	s_nop 0
	buffer_store_dword v5, off, s[20:23], 0 offset:1164 ; 4-byte Folded Spill
	v_accvgpr_write_b32 a9, v147
	v_accvgpr_write_b32 a10, v148
	;; [unrolled: 1-line block ×3, first 2 shown]
	v_mul_f64 v[6:7], v[10:11], v[6:7]
	v_fmac_f64_e32 v[0:1], v[6:7], v[148:149]
	buffer_load_dword v146, off, s[20:23], 0 offset:2772 ; 4-byte Folded Reload
	buffer_load_dword v147, off, s[20:23], 0 offset:2776 ; 4-byte Folded Reload
	;; [unrolled: 1-line block ×4, first 2 shown]
	v_mul_f64 v[4:5], v[16:17], v[4:5]
	s_waitcnt vmcnt(2)
	v_fmac_f64_e32 v[0:1], v[4:5], v[146:147]
	v_mul_f64 v[4:5], v[22:23], v[2:3]
	v_mul_f64 v[4:5], v[8:9], v[4:5]
	v_mul_f64 v[18:19], v[28:29], v[4:5]
	v_mul_f64 v[6:7], v[12:13], v[18:19]
	s_waitcnt vmcnt(0)
	v_accvgpr_write_b32 a102, v146
	v_fmac_f64_e32 v[0:1], v[6:7], v[148:149]
	v_accvgpr_write_b32 a103, v147
	v_accvgpr_write_b32 a104, v148
	;; [unrolled: 1-line block ×3, first 2 shown]
	buffer_load_dword v146, off, s[20:23], 0 offset:2788 ; 4-byte Folded Reload
	buffer_load_dword v147, off, s[20:23], 0 offset:2792 ; 4-byte Folded Reload
	;; [unrolled: 1-line block ×4, first 2 shown]
	v_accvgpr_write_b32 a89, v19
	v_accvgpr_write_b32 a88, v18
	v_mul_f64 v[18:19], v[30:31], v[4:5]
	v_accvgpr_write_b32 a67, v19
	v_mul_f64 v[6:7], v[14:15], v[18:19]
	;; [unrolled: 2-line block ×3, first 2 shown]
	v_accvgpr_write_b32 a65, v19
	v_accvgpr_write_b32 a64, v18
	buffer_store_dword a64, off, s[20:23], 0 offset:1856 ; 4-byte Folded Spill
	s_nop 0
	buffer_store_dword a65, off, s[20:23], 0 offset:1860 ; 4-byte Folded Spill
	s_waitcnt vmcnt(4)
	v_fmac_f64_e32 v[0:1], v[6:7], v[146:147]
	v_mul_f64 v[6:7], v[8:9], v[18:19]
	s_waitcnt vmcnt(2)
	v_fmac_f64_e32 v[0:1], v[6:7], v[148:149]
	v_mul_f64 v[6:7], v[40:41], v[4:5]
	v_accvgpr_write_b32 a94, v146
	buffer_store_dword v6, off, s[20:23], 0 offset:1080 ; 4-byte Folded Spill
	s_nop 0
	buffer_store_dword v7, off, s[20:23], 0 offset:1084 ; 4-byte Folded Spill
	v_accvgpr_write_b32 a95, v147
	v_accvgpr_write_b32 a96, v148
	;; [unrolled: 1-line block ×3, first 2 shown]
	buffer_load_dword v146, off, s[20:23], 0 offset:2804 ; 4-byte Folded Reload
	buffer_load_dword v147, off, s[20:23], 0 offset:2808 ; 4-byte Folded Reload
	;; [unrolled: 1-line block ×4, first 2 shown]
	v_mul_f64 v[6:7], v[10:11], v[6:7]
	s_waitcnt vmcnt(2)
	v_fmac_f64_e32 v[0:1], v[6:7], v[146:147]
	v_mul_f64 v[6:7], v[104:105], v[4:5]
	v_mul_f64 v[4:5], v[16:17], v[6:7]
	s_waitcnt vmcnt(0)
	v_fmac_f64_e32 v[0:1], v[4:5], v[148:149]
	v_mul_f64 v[4:5], v[24:25], v[2:3]
	v_accvgpr_write_b32 a79, v7
	v_mul_f64 v[4:5], v[10:11], v[4:5]
	v_accvgpr_write_b32 a78, v6
	;; [unrolled: 2-line block ×3, first 2 shown]
	buffer_store_dword v6, off, s[20:23], 0 offset:96 ; 4-byte Folded Spill
	s_nop 0
	buffer_store_dword v7, off, s[20:23], 0 offset:100 ; 4-byte Folded Spill
	v_accvgpr_write_b32 a129, v147
	v_accvgpr_write_b32 a130, v148
	;; [unrolled: 1-line block ×3, first 2 shown]
	buffer_load_dword v146, off, s[20:23], 0 offset:2820 ; 4-byte Folded Reload
	buffer_load_dword v147, off, s[20:23], 0 offset:2824 ; 4-byte Folded Reload
	;; [unrolled: 1-line block ×4, first 2 shown]
	v_mul_f64 v[2:3], v[62:63], v[2:3]
	v_mul_f64 v[2:3], v[16:17], v[2:3]
	;; [unrolled: 1-line block ×3, first 2 shown]
	s_waitcnt vmcnt(2)
	v_fmac_f64_e32 v[0:1], v[6:7], v[146:147]
	v_mul_f64 v[6:7], v[30:31], v[4:5]
	buffer_store_dword v6, off, s[20:23], 0 offset:112 ; 4-byte Folded Spill
	s_nop 0
	buffer_store_dword v7, off, s[20:23], 0 offset:116 ; 4-byte Folded Spill
	v_mul_f64 v[6:7], v[14:15], v[6:7]
	s_waitcnt vmcnt(2)
	v_fmac_f64_e32 v[0:1], v[6:7], v[148:149]
	v_mul_f64 v[6:7], v[38:39], v[4:5]
	buffer_store_dword v6, off, s[20:23], 0 offset:144 ; 4-byte Folded Spill
	s_nop 0
	buffer_store_dword v7, off, s[20:23], 0 offset:148 ; 4-byte Folded Spill
	buffer_load_dword v150, off, s[20:23], 0 offset:2836 ; 4-byte Folded Reload
	buffer_load_dword v151, off, s[20:23], 0 offset:2840 ; 4-byte Folded Reload
	;; [unrolled: 1-line block ×4, first 2 shown]
	v_mul_f64 v[6:7], v[8:9], v[6:7]
	s_waitcnt vmcnt(2)
	v_fmac_f64_e32 v[0:1], v[6:7], v[150:151]
	v_mul_f64 v[6:7], v[40:41], v[4:5]
	v_mul_f64 v[4:5], v[104:105], v[4:5]
	buffer_store_dword v6, off, s[20:23], 0 offset:160 ; 4-byte Folded Spill
	s_nop 0
	buffer_store_dword v7, off, s[20:23], 0 offset:164 ; 4-byte Folded Spill
	buffer_store_dword v4, off, s[20:23], 0 offset:128 ; 4-byte Folded Spill
	s_nop 0
	buffer_store_dword v5, off, s[20:23], 0 offset:132 ; 4-byte Folded Spill
	buffer_load_dword v154, off, s[20:23], 0 offset:2852 ; 4-byte Folded Reload
	buffer_load_dword v155, off, s[20:23], 0 offset:2856 ; 4-byte Folded Reload
	;; [unrolled: 1-line block ×4, first 2 shown]
	v_mul_f64 v[6:7], v[10:11], v[6:7]
	s_waitcnt vmcnt(8)
	v_fmac_f64_e32 v[0:1], v[6:7], v[152:153]
	v_mul_f64 v[4:5], v[16:17], v[4:5]
	s_waitcnt vmcnt(2)
	v_fmac_f64_e32 v[0:1], v[4:5], v[154:155]
	v_mul_f64 v[4:5], v[28:29], v[2:3]
	buffer_store_dword v4, off, s[20:23], 0 offset:192 ; 4-byte Folded Spill
	s_nop 0
	buffer_store_dword v5, off, s[20:23], 0 offset:196 ; 4-byte Folded Spill
	v_mul_f64 v[6:7], v[38:39], v[2:3]
	v_accvgpr_write_b32 a155, v7
	v_accvgpr_write_b32 a154, v6
	v_mul_f64 v[4:5], v[12:13], v[4:5]
	s_waitcnt vmcnt(2)
	v_fmac_f64_e32 v[0:1], v[4:5], v[156:157]
	v_mul_f64 v[4:5], v[30:31], v[2:3]
	buffer_store_dword v4, off, s[20:23], 0 offset:176 ; 4-byte Folded Spill
	s_nop 0
	buffer_store_dword v5, off, s[20:23], 0 offset:180 ; 4-byte Folded Spill
	buffer_load_dword v166, off, s[20:23], 0 offset:2868 ; 4-byte Folded Reload
	buffer_load_dword v167, off, s[20:23], 0 offset:2872 ; 4-byte Folded Reload
	;; [unrolled: 1-line block ×4, first 2 shown]
	s_nop 0
	buffer_store_dword a154, off, s[20:23], 0 offset:1848 ; 4-byte Folded Spill
	s_nop 0
	buffer_store_dword a155, off, s[20:23], 0 offset:1852 ; 4-byte Folded Spill
	v_mul_f64 v[4:5], v[14:15], v[4:5]
	s_waitcnt vmcnt(4)
	v_fmac_f64_e32 v[0:1], v[4:5], v[166:167]
	v_mul_f64 v[4:5], v[8:9], v[6:7]
	v_mul_f64 v[6:7], v[40:41], v[2:3]
	v_accvgpr_write_b32 a151, v7
	v_accvgpr_write_b32 a150, v6
	buffer_store_dword a150, off, s[20:23], 0 offset:1832 ; 4-byte Folded Spill
	s_nop 0
	buffer_store_dword a151, off, s[20:23], 0 offset:1836 ; 4-byte Folded Spill
	buffer_load_dword v174, off, s[20:23], 0 offset:2884 ; 4-byte Folded Reload
	buffer_load_dword v175, off, s[20:23], 0 offset:2888 ; 4-byte Folded Reload
	;; [unrolled: 1-line block ×4, first 2 shown]
	s_waitcnt vmcnt(8)
	v_fmac_f64_e32 v[0:1], v[4:5], v[168:169]
	v_mul_f64 v[4:5], v[10:11], v[6:7]
	s_waitcnt vmcnt(2)
	v_fmac_f64_e32 v[0:1], v[4:5], v[174:175]
	v_mul_f64 v[4:5], v[104:105], v[2:3]
	v_accvgpr_write_b32 a153, v5
	v_accvgpr_write_b32 a152, v4
	v_mul_f64 v[2:3], v[16:17], v[4:5]
	buffer_store_dword a152, off, s[20:23], 0 offset:1840 ; 4-byte Folded Spill
	s_nop 0
	buffer_store_dword a153, off, s[20:23], 0 offset:1844 ; 4-byte Folded Spill
	s_waitcnt vmcnt(2)
	v_fmac_f64_e32 v[0:1], v[2:3], v[176:177]
	ds_read2_b64 v[2:5], v255 offset0:12 offset1:16
	s_waitcnt lgkmcnt(0)
	buffer_store_dword v2, off, s[20:23], 0 offset:1736 ; 4-byte Folded Spill
	s_nop 0
	buffer_store_dword v3, off, s[20:23], 0 offset:1740 ; 4-byte Folded Spill
	buffer_store_dword v4, off, s[20:23], 0 offset:1744 ; 4-byte Folded Spill
	;; [unrolled: 1-line block ×3, first 2 shown]
	buffer_load_dword v2, off, s[20:23], 0 offset:1940 ; 4-byte Folded Reload
	s_nop 0
	buffer_load_dword v3, off, s[20:23], 0 offset:1944 ; 4-byte Folded Reload
	s_waitcnt vmcnt(0)
	v_mul_f64 v[2:3], v[2:3], v[4:5]
	v_mul_f64 v[4:5], v[136:137], v[2:3]
	;; [unrolled: 1-line block ×4, first 2 shown]
	v_accvgpr_write_b32 a107, v19
	v_accvgpr_write_b32 a106, v18
	buffer_store_dword a106, off, s[20:23], 0 offset:1784 ; 4-byte Folded Spill
	s_nop 0
	buffer_store_dword a107, off, s[20:23], 0 offset:1788 ; 4-byte Folded Spill
	buffer_load_dword v178, off, s[20:23], 0 offset:2900 ; 4-byte Folded Reload
	buffer_load_dword v179, off, s[20:23], 0 offset:2904 ; 4-byte Folded Reload
	;; [unrolled: 1-line block ×4, first 2 shown]
	v_mul_f64 v[6:7], v[12:13], v[18:19]
	v_mul_f64 v[18:19], v[30:31], v[4:5]
	v_accvgpr_write_b32 a85, v19
	v_accvgpr_write_b32 a84, v18
	buffer_store_dword a84, off, s[20:23], 0 offset:1792 ; 4-byte Folded Spill
	s_nop 0
	buffer_store_dword a85, off, s[20:23], 0 offset:1796 ; 4-byte Folded Spill
	s_waitcnt vmcnt(4)
	v_fmac_f64_e32 v[0:1], v[178:179], v[6:7]
	v_mul_f64 v[6:7], v[14:15], v[18:19]
	v_mul_f64 v[18:19], v[38:39], v[4:5]
	v_accvgpr_write_b32 a113, v19
	v_accvgpr_write_b32 a112, v18
	buffer_store_dword a112, off, s[20:23], 0 offset:1800 ; 4-byte Folded Spill
	s_nop 0
	buffer_store_dword a113, off, s[20:23], 0 offset:1804 ; 4-byte Folded Spill
	buffer_load_dword v182, off, s[20:23], 0 offset:2916 ; 4-byte Folded Reload
	buffer_load_dword v183, off, s[20:23], 0 offset:2920 ; 4-byte Folded Reload
	;; [unrolled: 1-line block ×4, first 2 shown]
	s_waitcnt vmcnt(8)
	v_fmac_f64_e32 v[0:1], v[180:181], v[6:7]
	v_mul_f64 v[6:7], v[8:9], v[18:19]
	v_mul_f64 v[18:19], v[40:41], v[4:5]
	v_accvgpr_write_b32 a119, v19
	v_accvgpr_write_b32 a118, v18
	buffer_store_dword a118, off, s[20:23], 0 offset:1808 ; 4-byte Folded Spill
	s_nop 0
	buffer_store_dword a119, off, s[20:23], 0 offset:1812 ; 4-byte Folded Spill
	s_waitcnt vmcnt(4)
	v_fmac_f64_e32 v[0:1], v[182:183], v[6:7]
	v_mul_f64 v[6:7], v[10:11], v[18:19]
	s_waitcnt vmcnt(2)
	v_fmac_f64_e32 v[0:1], v[184:185], v[6:7]
	v_mul_f64 v[6:7], v[104:105], v[4:5]
	v_accvgpr_write_b32 a149, v7
	v_accvgpr_write_b32 a148, v6
	buffer_store_dword a148, off, s[20:23], 0 offset:1816 ; 4-byte Folded Spill
	s_nop 0
	buffer_store_dword a149, off, s[20:23], 0 offset:1820 ; 4-byte Folded Spill
	buffer_load_dword v186, off, s[20:23], 0 offset:2932 ; 4-byte Folded Reload
	buffer_load_dword v187, off, s[20:23], 0 offset:2936 ; 4-byte Folded Reload
	;; [unrolled: 1-line block ×4, first 2 shown]
	v_mul_f64 v[4:5], v[16:17], v[6:7]
	s_waitcnt vmcnt(2)
	v_fmac_f64_e32 v[0:1], v[4:5], v[186:187]
	v_mul_f64 v[4:5], v[138:139], v[2:3]
	v_mul_f64 v[4:5], v[14:15], v[4:5]
	;; [unrolled: 1-line block ×4, first 2 shown]
	v_accvgpr_write_b32 a87, v19
	v_accvgpr_write_b32 a86, v18
	s_waitcnt vmcnt(0)
	v_fmac_f64_e32 v[0:1], v[6:7], v[188:189]
	v_mul_f64 v[6:7], v[30:31], v[4:5]
	buffer_store_dword a86, off, s[20:23], 0 offset:1824 ; 4-byte Folded Spill
	s_nop 0
	buffer_store_dword a87, off, s[20:23], 0 offset:1828 ; 4-byte Folded Spill
	buffer_store_dword v6, off, s[20:23], 0 offset:1416 ; 4-byte Folded Spill
	s_nop 0
	buffer_store_dword v7, off, s[20:23], 0 offset:1420 ; 4-byte Folded Spill
	buffer_load_dword v250, off, s[20:23], 0 offset:2948 ; 4-byte Folded Reload
	buffer_load_dword v251, off, s[20:23], 0 offset:2952 ; 4-byte Folded Reload
	;; [unrolled: 1-line block ×4, first 2 shown]
	v_accvgpr_read_b32 v21, a17
	v_accvgpr_read_b32 v20, a16
	;; [unrolled: 1-line block ×4, first 2 shown]
	v_mul_f64 v[6:7], v[14:15], v[6:7]
	s_waitcnt vmcnt(2)
	v_fmac_f64_e32 v[0:1], v[6:7], v[250:251]
	v_mul_f64 v[6:7], v[38:39], v[4:5]
	buffer_store_dword v6, off, s[20:23], 0 offset:1384 ; 4-byte Folded Spill
	s_nop 0
	buffer_store_dword v7, off, s[20:23], 0 offset:1388 ; 4-byte Folded Spill
	v_mul_f64 v[6:7], v[8:9], v[6:7]
	s_waitcnt vmcnt(2)
	v_fmac_f64_e32 v[0:1], v[6:7], v[252:253]
	v_mul_f64 v[6:7], v[40:41], v[4:5]
	buffer_store_dword v6, off, s[20:23], 0 offset:1240 ; 4-byte Folded Spill
	s_nop 0
	buffer_store_dword v7, off, s[20:23], 0 offset:1244 ; 4-byte Folded Spill
	buffer_load_dword v242, off, s[20:23], 0 offset:2964 ; 4-byte Folded Reload
	buffer_load_dword v243, off, s[20:23], 0 offset:2968 ; 4-byte Folded Reload
	;; [unrolled: 1-line block ×4, first 2 shown]
	v_mul_f64 v[4:5], v[104:105], v[4:5]
	buffer_store_dword v4, off, s[20:23], 0 offset:1288 ; 4-byte Folded Spill
	s_nop 0
	buffer_store_dword v5, off, s[20:23], 0 offset:1292 ; 4-byte Folded Spill
	v_mul_f64 v[6:7], v[10:11], v[6:7]
	s_waitcnt vmcnt(4)
	v_fmac_f64_e32 v[0:1], v[6:7], v[242:243]
	v_mul_f64 v[4:5], v[16:17], v[4:5]
	s_waitcnt vmcnt(2)
	v_fmac_f64_e32 v[0:1], v[4:5], v[244:245]
	v_mul_f64 v[4:5], v[22:23], v[2:3]
	v_mul_f64 v[4:5], v[8:9], v[4:5]
	;; [unrolled: 1-line block ×3, first 2 shown]
	buffer_store_dword v6, off, s[20:23], 0 offset:1352 ; 4-byte Folded Spill
	s_nop 0
	buffer_store_dword v7, off, s[20:23], 0 offset:1356 ; 4-byte Folded Spill
	buffer_load_dword v234, off, s[20:23], 0 offset:2980 ; 4-byte Folded Reload
	buffer_load_dword v235, off, s[20:23], 0 offset:2984 ; 4-byte Folded Reload
	;; [unrolled: 1-line block ×4, first 2 shown]
	v_mul_f64 v[6:7], v[12:13], v[6:7]
	s_waitcnt vmcnt(2)
	v_fmac_f64_e32 v[0:1], v[6:7], v[234:235]
	v_mul_f64 v[6:7], v[30:31], v[4:5]
	buffer_store_dword v6, off, s[20:23], 0 offset:1272 ; 4-byte Folded Spill
	s_nop 0
	buffer_store_dword v7, off, s[20:23], 0 offset:1276 ; 4-byte Folded Spill
	v_mul_f64 v[6:7], v[14:15], v[6:7]
	s_waitcnt vmcnt(2)
	v_fmac_f64_e32 v[0:1], v[6:7], v[236:237]
	v_mul_f64 v[6:7], v[38:39], v[4:5]
	buffer_store_dword v6, off, s[20:23], 0 offset:1368 ; 4-byte Folded Spill
	s_nop 0
	buffer_store_dword v7, off, s[20:23], 0 offset:1372 ; 4-byte Folded Spill
	buffer_load_dword v230, off, s[20:23], 0 offset:2996 ; 4-byte Folded Reload
	buffer_load_dword v231, off, s[20:23], 0 offset:3000 ; 4-byte Folded Reload
	;; [unrolled: 1-line block ×4, first 2 shown]
	v_mul_f64 v[6:7], v[8:9], v[6:7]
	s_waitcnt vmcnt(2)
	v_fmac_f64_e32 v[0:1], v[6:7], v[230:231]
	v_mul_f64 v[6:7], v[40:41], v[4:5]
	v_mul_f64 v[4:5], v[104:105], v[4:5]
	buffer_store_dword v6, off, s[20:23], 0 offset:1336 ; 4-byte Folded Spill
	s_nop 0
	buffer_store_dword v7, off, s[20:23], 0 offset:1340 ; 4-byte Folded Spill
	buffer_store_dword v4, off, s[20:23], 0 offset:1256 ; 4-byte Folded Spill
	s_nop 0
	buffer_store_dword v5, off, s[20:23], 0 offset:1260 ; 4-byte Folded Spill
	buffer_load_dword v226, off, s[20:23], 0 offset:3012 ; 4-byte Folded Reload
	buffer_load_dword v227, off, s[20:23], 0 offset:3016 ; 4-byte Folded Reload
	buffer_load_dword v228, off, s[20:23], 0 offset:3020 ; 4-byte Folded Reload
	buffer_load_dword v229, off, s[20:23], 0 offset:3024 ; 4-byte Folded Reload
	v_mul_f64 v[6:7], v[10:11], v[6:7]
	s_waitcnt vmcnt(8)
	v_fmac_f64_e32 v[0:1], v[6:7], v[232:233]
	v_mul_f64 v[4:5], v[16:17], v[4:5]
	s_waitcnt vmcnt(2)
	v_fmac_f64_e32 v[0:1], v[4:5], v[226:227]
	v_mul_f64 v[4:5], v[24:25], v[2:3]
	v_mul_f64 v[4:5], v[10:11], v[4:5]
	;; [unrolled: 1-line block ×3, first 2 shown]
	buffer_store_dword v6, off, s[20:23], 0 offset:1432 ; 4-byte Folded Spill
	s_nop 0
	buffer_store_dword v7, off, s[20:23], 0 offset:1436 ; 4-byte Folded Spill
	v_mul_f64 v[2:3], v[62:63], v[2:3]
	v_mul_f64 v[2:3], v[16:17], v[2:3]
	v_accvgpr_read_b32 v25, a23
	v_accvgpr_read_b32 v24, a22
	;; [unrolled: 1-line block ×4, first 2 shown]
	v_accvgpr_write_b32 a20, v86
	v_accvgpr_write_b32 a21, v87
	;; [unrolled: 1-line block ×4, first 2 shown]
	v_mul_f64 v[6:7], v[12:13], v[6:7]
	s_waitcnt vmcnt(2)
	v_fmac_f64_e32 v[0:1], v[6:7], v[228:229]
	v_mul_f64 v[6:7], v[30:31], v[4:5]
	buffer_store_dword v6, off, s[20:23], 0 offset:1448 ; 4-byte Folded Spill
	s_nop 0
	buffer_store_dword v7, off, s[20:23], 0 offset:1452 ; 4-byte Folded Spill
	buffer_load_dword v222, off, s[20:23], 0 offset:3028 ; 4-byte Folded Reload
	buffer_load_dword v223, off, s[20:23], 0 offset:3032 ; 4-byte Folded Reload
	;; [unrolled: 1-line block ×4, first 2 shown]
	v_mul_f64 v[6:7], v[14:15], v[6:7]
	s_waitcnt vmcnt(2)
	v_fmac_f64_e32 v[0:1], v[6:7], v[222:223]
	v_mul_f64 v[6:7], v[38:39], v[4:5]
	buffer_store_dword v6, off, s[20:23], 0 offset:1464 ; 4-byte Folded Spill
	s_nop 0
	buffer_store_dword v7, off, s[20:23], 0 offset:1468 ; 4-byte Folded Spill
	v_mul_f64 v[6:7], v[8:9], v[6:7]
	s_waitcnt vmcnt(2)
	v_fmac_f64_e32 v[0:1], v[6:7], v[224:225]
	v_mul_f64 v[6:7], v[40:41], v[4:5]
	buffer_store_dword v6, off, s[20:23], 0 offset:1480 ; 4-byte Folded Spill
	s_nop 0
	buffer_store_dword v7, off, s[20:23], 0 offset:1484 ; 4-byte Folded Spill
	buffer_load_dword v218, off, s[20:23], 0 offset:3044 ; 4-byte Folded Reload
	buffer_load_dword v219, off, s[20:23], 0 offset:3048 ; 4-byte Folded Reload
	;; [unrolled: 1-line block ×4, first 2 shown]
	v_mul_f64 v[4:5], v[104:105], v[4:5]
	buffer_store_dword v4, off, s[20:23], 0 offset:1496 ; 4-byte Folded Spill
	s_nop 0
	buffer_store_dword v5, off, s[20:23], 0 offset:1500 ; 4-byte Folded Spill
	v_mul_f64 v[6:7], v[10:11], v[6:7]
	s_waitcnt vmcnt(4)
	v_fmac_f64_e32 v[0:1], v[6:7], v[218:219]
	v_mul_f64 v[4:5], v[16:17], v[4:5]
	s_waitcnt vmcnt(2)
	v_fmac_f64_e32 v[0:1], v[4:5], v[220:221]
	v_mul_f64 v[4:5], v[28:29], v[2:3]
	buffer_store_dword v4, off, s[20:23], 0 offset:1512 ; 4-byte Folded Spill
	s_nop 0
	buffer_store_dword v5, off, s[20:23], 0 offset:1516 ; 4-byte Folded Spill
	buffer_load_dword v202, off, s[20:23], 0 offset:3060 ; 4-byte Folded Reload
	buffer_load_dword v203, off, s[20:23], 0 offset:3064 ; 4-byte Folded Reload
	;; [unrolled: 1-line block ×4, first 2 shown]
	v_pk_mov_b32 v[6:7], v[84:85], v[84:85] op_sel:[0,1]
	v_mul_f64 v[4:5], v[12:13], v[4:5]
	s_waitcnt vmcnt(2)
	v_fmac_f64_e32 v[0:1], v[4:5], v[202:203]
	v_mul_f64 v[4:5], v[30:31], v[2:3]
	buffer_store_dword v4, off, s[20:23], 0 offset:1400 ; 4-byte Folded Spill
	s_nop 0
	buffer_store_dword v5, off, s[20:23], 0 offset:1404 ; 4-byte Folded Spill
	v_mul_f64 v[4:5], v[14:15], v[4:5]
	s_waitcnt vmcnt(2)
	v_fmac_f64_e32 v[0:1], v[4:5], v[204:205]
	v_mul_f64 v[4:5], v[38:39], v[2:3]
	buffer_store_dword v4, off, s[20:23], 0 offset:1528 ; 4-byte Folded Spill
	s_nop 0
	buffer_store_dword v5, off, s[20:23], 0 offset:1532 ; 4-byte Folded Spill
	buffer_load_dword v198, off, s[20:23], 0 offset:3076 ; 4-byte Folded Reload
	buffer_load_dword v199, off, s[20:23], 0 offset:3080 ; 4-byte Folded Reload
	;; [unrolled: 1-line block ×4, first 2 shown]
	v_mul_f64 v[4:5], v[8:9], v[4:5]
	v_accvgpr_read_b32 v8, a70
	s_waitcnt vmcnt(2)
	v_fmac_f64_e32 v[0:1], v[4:5], v[198:199]
	v_mul_f64 v[4:5], v[40:41], v[2:3]
	buffer_store_dword v4, off, s[20:23], 0 offset:1544 ; 4-byte Folded Spill
	s_nop 0
	buffer_store_dword v5, off, s[20:23], 0 offset:1548 ; 4-byte Folded Spill
	v_mul_f64 v[2:3], v[104:105], v[2:3]
	buffer_store_dword v2, off, s[20:23], 0 offset:1560 ; 4-byte Folded Spill
	s_nop 0
	buffer_store_dword v3, off, s[20:23], 0 offset:1564 ; 4-byte Folded Spill
	v_accvgpr_read_b32 v9, a71
	v_mul_f64 v[102:103], v[10:11], v[4:5]
	s_waitcnt vmcnt(4)
	v_fmac_f64_e32 v[0:1], v[102:103], v[200:201]
	v_mul_f64 v[102:103], v[16:17], v[2:3]
	v_fmac_f64_e32 v[0:1], v[102:103], v[56:57]
	global_store_dwordx2 v[26:27], v[0:1], off
	buffer_load_dword v62, off, s[20:23], 0 offset:3108 ; 4-byte Folded Reload
	buffer_load_dword v63, off, s[20:23], 0 offset:3112 ; 4-byte Folded Reload
	;; [unrolled: 1-line block ×8, first 2 shown]
	v_pk_mov_b32 v[10:11], v[70:71], v[70:71] op_sel:[0,1]
	v_pk_mov_b32 v[12:13], v[72:73], v[72:73] op_sel:[0,1]
	buffer_load_dword v70, off, s[20:23], 0 offset:3172 ; 4-byte Folded Reload
	buffer_load_dword v71, off, s[20:23], 0 offset:3176 ; 4-byte Folded Reload
	;; [unrolled: 1-line block ×4, first 2 shown]
	v_accvgpr_read_b32 v14, a80
	v_accvgpr_read_b32 v2, a36
	;; [unrolled: 1-line block ×6, first 2 shown]
	v_accvgpr_write_b32 a80, v98
	v_accvgpr_write_b32 a81, v99
	;; [unrolled: 1-line block ×4, first 2 shown]
	s_waitcnt vmcnt(8)
	v_mul_f64 v[0:1], v[64:65], v[36:37]
	v_fma_f64 v[0:1], v[54:55], v[0:1], 0
	s_waitcnt vmcnt(4)
	v_mul_f64 v[102:103], v[68:69], v[76:77]
	v_fmac_f64_e32 v[0:1], v[12:13], v[102:103]
	s_waitcnt vmcnt(0)
	v_mul_f64 v[102:103], v[72:73], v[74:75]
	buffer_load_dword v74, off, s[20:23], 0 offset:3204 ; 4-byte Folded Reload
	buffer_load_dword v75, off, s[20:23], 0 offset:3208 ; 4-byte Folded Reload
	;; [unrolled: 1-line block ×4, first 2 shown]
	v_accvgpr_read_b32 v54, a160
	v_accvgpr_read_b32 v56, a162
	;; [unrolled: 1-line block ×3, first 2 shown]
	v_fmac_f64_e32 v[0:1], v[56:57], v[102:103]
	v_accvgpr_read_b32 v55, a161
	v_accvgpr_write_b32 a163, v125
	v_accvgpr_write_b32 a162, v124
	;; [unrolled: 1-line block ×4, first 2 shown]
	s_waitcnt vmcnt(0)
	v_mul_f64 v[102:103], v[76:77], v[78:79]
	buffer_load_dword v78, off, s[20:23], 0 offset:3092 ; 4-byte Folded Reload
	buffer_load_dword v79, off, s[20:23], 0 offset:3096 ; 4-byte Folded Reload
	;; [unrolled: 1-line block ×4, first 2 shown]
	v_fmac_f64_e32 v[0:1], v[16:17], v[102:103]
	s_waitcnt vmcnt(0)
	v_mul_f64 v[102:103], v[80:81], v[2:3]
	v_accvgpr_read_b32 v2, a90
	v_accvgpr_read_b32 v4, a92
	;; [unrolled: 1-line block ×3, first 2 shown]
	v_fmac_f64_e32 v[0:1], v[102:103], v[4:5]
	v_mul_f64 v[102:103], v[64:65], v[6:7]
	v_accvgpr_read_b32 v6, a18
	v_accvgpr_read_b32 v7, a19
	v_fmac_f64_e32 v[0:1], v[102:103], v[34:35]
	v_mul_f64 v[102:103], v[68:69], v[6:7]
	buffer_load_dword v6, off, s[20:23], 0 offset:208 ; 4-byte Folded Reload
	buffer_load_dword v7, off, s[20:23], 0 offset:212 ; 4-byte Folded Reload
	v_fmac_f64_e32 v[0:1], v[102:103], v[24:25]
	v_mul_f64 v[102:103], v[72:73], v[32:33]
	v_accvgpr_read_b32 v35, a27
	v_accvgpr_read_b32 v34, a26
	v_fmac_f64_e32 v[0:1], v[102:103], v[34:35]
	v_mul_f64 v[102:103], v[76:77], v[82:83]
	v_accvgpr_read_b32 v85, a31
	v_accvgpr_read_b32 v84, a30
	v_fmac_f64_e32 v[0:1], v[102:103], v[84:85]
	v_mul_f64 v[102:103], v[80:81], v[158:159]
	v_fmac_f64_e32 v[0:1], v[102:103], v[20:21]
	v_accvgpr_read_b32 v3, a91
	v_accvgpr_write_b32 a90, v90
	v_accvgpr_write_b32 a91, v91
	;; [unrolled: 1-line block ×4, first 2 shown]
	v_accvgpr_read_b32 v33, a25
	v_accvgpr_read_b32 v32, a24
	v_accvgpr_write_b32 a24, v94
	v_accvgpr_write_b32 a25, v95
	;; [unrolled: 1-line block ×4, first 2 shown]
	v_accvgpr_read_b32 v83, a29
	v_accvgpr_read_b32 v82, a28
	v_accvgpr_write_b32 a28, v130
	v_accvgpr_write_b32 a29, v131
	v_accvgpr_write_b32 a30, v132
	v_accvgpr_write_b32 a31, v133
	s_waitcnt vmcnt(0)
	v_mul_f64 v[102:103], v[64:65], v[6:7]
	buffer_load_dword v6, off, s[20:23], 0 offset:80 ; 4-byte Folded Reload
	buffer_load_dword v7, off, s[20:23], 0 offset:84 ; 4-byte Folded Reload
	v_fmac_f64_e32 v[0:1], v[102:103], v[128:129]
	v_accvgpr_read_b32 v129, a105
	v_accvgpr_read_b32 v127, a103
	;; [unrolled: 1-line block ×4, first 2 shown]
	s_waitcnt vmcnt(0)
	v_mul_f64 v[102:103], v[68:69], v[6:7]
	buffer_load_dword v6, off, s[20:23], 0 offset:224 ; 4-byte Folded Reload
	buffer_load_dword v7, off, s[20:23], 0 offset:228 ; 4-byte Folded Reload
	v_fmac_f64_e32 v[0:1], v[102:103], v[112:113]
	v_mul_f64 v[102:103], v[72:73], v[8:9]
	v_fmac_f64_e32 v[0:1], v[102:103], v[88:89]
	v_accvgpr_read_b32 v89, a35
	v_accvgpr_read_b32 v88, a34
	;; [unrolled: 1-line block ×6, first 2 shown]
	v_accvgpr_write_b32 a32, v42
	v_accvgpr_write_b32 a33, v43
	;; [unrolled: 1-line block ×4, first 2 shown]
	v_accvgpr_read_b32 v111, a1
	v_accvgpr_read_b32 v110, a0
	v_accvgpr_write_b32 a0, v2
	v_accvgpr_write_b32 a1, v3
	;; [unrolled: 1-line block ×4, first 2 shown]
	s_waitcnt vmcnt(0)
	v_mul_f64 v[102:103], v[76:77], v[6:7]
	v_accvgpr_read_b32 v6, a68
	v_accvgpr_read_b32 v7, a69
	v_fmac_f64_e32 v[0:1], v[102:103], v[88:89]
	v_mul_f64 v[102:103], v[80:81], v[6:7]
	buffer_load_dword v6, off, s[20:23], 0 offset:240 ; 4-byte Folded Reload
	buffer_load_dword v7, off, s[20:23], 0 offset:244 ; 4-byte Folded Reload
	v_fmac_f64_e32 v[0:1], v[102:103], v[96:97]
	v_accvgpr_read_b32 v97, a75
	v_accvgpr_read_b32 v96, a74
	;; [unrolled: 1-line block ×4, first 2 shown]
	v_accvgpr_write_b32 a72, v106
	v_accvgpr_write_b32 a73, v107
	;; [unrolled: 1-line block ×4, first 2 shown]
	s_waitcnt vmcnt(0)
	v_mul_f64 v[102:103], v[64:65], v[6:7]
	buffer_load_dword v6, off, s[20:23], 0 offset:256 ; 4-byte Folded Reload
	buffer_load_dword v7, off, s[20:23], 0 offset:260 ; 4-byte Folded Reload
	v_fmac_f64_e32 v[0:1], v[102:103], v[92:93]
	v_accvgpr_read_b32 v93, a41
	v_accvgpr_read_b32 v92, a40
	;; [unrolled: 1-line block ×4, first 2 shown]
	v_accvgpr_mov_b32 a36, a120
	v_accvgpr_mov_b32 a37, a121
	;; [unrolled: 1-line block ×4, first 2 shown]
	s_waitcnt vmcnt(0)
	v_mul_f64 v[102:103], v[68:69], v[6:7]
	buffer_load_dword v6, off, s[20:23], 0 offset:272 ; 4-byte Folded Reload
	buffer_load_dword v7, off, s[20:23], 0 offset:276 ; 4-byte Folded Reload
	v_fmac_f64_e32 v[0:1], v[102:103], v[92:93]
	s_waitcnt vmcnt(0)
	v_mul_f64 v[102:103], v[72:73], v[6:7]
	buffer_load_dword v6, off, s[20:23], 0 offset:288 ; 4-byte Folded Reload
	buffer_load_dword v7, off, s[20:23], 0 offset:292 ; 4-byte Folded Reload
	v_fmac_f64_e32 v[0:1], v[102:103], v[132:133]
	v_accvgpr_read_b32 v133, a97
	v_accvgpr_read_b32 v131, a95
	v_accvgpr_read_b32 v130, a94
	v_accvgpr_read_b32 v132, a96
	s_waitcnt vmcnt(0)
	v_mul_f64 v[102:103], v[76:77], v[6:7]
	buffer_load_dword v6, off, s[20:23], 0 offset:304 ; 4-byte Folded Reload
	buffer_load_dword v7, off, s[20:23], 0 offset:308 ; 4-byte Folded Reload
	v_fmac_f64_e32 v[0:1], v[102:103], v[96:97]
	s_waitcnt vmcnt(0)
	v_mul_f64 v[102:103], v[80:81], v[6:7]
	buffer_load_dword v6, off, s[20:23], 0 offset:336 ; 4-byte Folded Reload
	buffer_load_dword v7, off, s[20:23], 0 offset:340 ; 4-byte Folded Reload
	v_fmac_f64_e32 v[0:1], v[102:103], v[44:45]
	v_accvgpr_read_b32 v42, a192
	v_accvgpr_read_b32 v43, a193
	;; [unrolled: 1-line block ×4, first 2 shown]
	s_waitcnt vmcnt(0)
	v_mul_f64 v[102:103], v[64:65], v[6:7]
	buffer_load_dword v6, off, s[20:23], 0 offset:320 ; 4-byte Folded Reload
	buffer_load_dword v7, off, s[20:23], 0 offset:324 ; 4-byte Folded Reload
	v_fmac_f64_e32 v[0:1], v[102:103], v[100:101]
	v_accvgpr_read_b32 v101, a53
	v_accvgpr_read_b32 v100, a52
	;; [unrolled: 1-line block ×4, first 2 shown]
	v_accvgpr_mov_b32 a53, a49
	v_accvgpr_mov_b32 a52, a48
	v_accvgpr_mov_b32 a51, a47
	v_accvgpr_mov_b32 a50, a46
	s_waitcnt vmcnt(0)
	v_mul_f64 v[102:103], v[68:69], v[6:7]
	buffer_load_dword v6, off, s[20:23], 0 offset:368 ; 4-byte Folded Reload
	buffer_load_dword v7, off, s[20:23], 0 offset:372 ; 4-byte Folded Reload
	v_fmac_f64_e32 v[0:1], v[102:103], v[100:101]
	s_waitcnt vmcnt(0)
	v_mul_f64 v[102:103], v[72:73], v[6:7]
	buffer_load_dword v6, off, s[20:23], 0 offset:352 ; 4-byte Folded Reload
	buffer_load_dword v7, off, s[20:23], 0 offset:356 ; 4-byte Folded Reload
	v_fmac_f64_e32 v[0:1], v[102:103], v[124:125]
	v_accvgpr_read_b32 v125, a111
	v_accvgpr_read_b32 v123, a109
	;; [unrolled: 1-line block ×4, first 2 shown]
	v_accvgpr_write_b32 a111, v85
	v_accvgpr_write_b32 a110, v84
	;; [unrolled: 1-line block ×4, first 2 shown]
	s_waitcnt vmcnt(0)
	v_mul_f64 v[102:103], v[76:77], v[6:7]
	buffer_load_dword v6, off, s[20:23], 0 offset:16 ; 4-byte Folded Reload
	buffer_load_dword v7, off, s[20:23], 0 offset:20 ; 4-byte Folded Reload
	;; [unrolled: 1-line block ×6, first 2 shown]
	s_waitcnt vmcnt(2)
	v_fmac_f64_e32 v[0:1], v[102:103], v[8:9]
	s_waitcnt vmcnt(0)
	v_mul_f64 v[102:103], v[80:81], v[6:7]
	buffer_load_dword v6, off, s[20:23], 0 offset:32 ; 4-byte Folded Reload
	buffer_load_dword v7, off, s[20:23], 0 offset:36 ; 4-byte Folded Reload
	;; [unrolled: 1-line block ×6, first 2 shown]
	s_waitcnt vmcnt(2)
	v_fmac_f64_e32 v[0:1], v[102:103], v[8:9]
	s_waitcnt vmcnt(0)
	v_mul_f64 v[102:103], v[64:65], v[6:7]
	buffer_load_dword v6, off, s[20:23], 0 offset:384 ; 4-byte Folded Reload
	buffer_load_dword v7, off, s[20:23], 0 offset:388 ; 4-byte Folded Reload
	v_fmac_f64_e32 v[0:1], v[108:109], v[102:103]
	v_accvgpr_read_b32 v109, a45
	v_accvgpr_read_b32 v108, a44
	v_accvgpr_read_b32 v107, a43
	v_accvgpr_read_b32 v106, a42
	v_accvgpr_write_b32 a42, v118
	v_accvgpr_write_b32 a43, v119
	;; [unrolled: 1-line block ×4, first 2 shown]
	s_waitcnt vmcnt(0)
	v_mul_f64 v[102:103], v[68:69], v[6:7]
	buffer_load_dword v6, off, s[20:23], 0 offset:48 ; 4-byte Folded Reload
	buffer_load_dword v7, off, s[20:23], 0 offset:52 ; 4-byte Folded Reload
	buffer_load_dword v8, off, s[20:23], 0 offset:56 ; 4-byte Folded Reload
	buffer_load_dword v9, off, s[20:23], 0 offset:60 ; 4-byte Folded Reload
	buffer_load_dword v6, off, s[20:23], 0 offset:448 ; 4-byte Folded Reload
	buffer_load_dword v7, off, s[20:23], 0 offset:452 ; 4-byte Folded Reload
	s_waitcnt vmcnt(2)
	v_fmac_f64_e32 v[0:1], v[8:9], v[102:103]
	s_waitcnt vmcnt(0)
	v_mul_f64 v[102:103], v[72:73], v[6:7]
	buffer_load_dword v6, off, s[20:23], 0 offset:416 ; 4-byte Folded Reload
	buffer_load_dword v7, off, s[20:23], 0 offset:420 ; 4-byte Folded Reload
	v_fmac_f64_e32 v[0:1], v[108:109], v[102:103]
	s_waitcnt vmcnt(0)
	v_mul_f64 v[102:103], v[76:77], v[6:7]
	v_accvgpr_read_b32 v6, a142
	v_accvgpr_read_b32 v7, a143
	buffer_load_dword v6, off, s[20:23], 0 offset:464 ; 4-byte Folded Reload
	buffer_load_dword v7, off, s[20:23], 0 offset:468 ; 4-byte Folded Reload
	v_accvgpr_read_b32 v8, a144
	v_accvgpr_read_b32 v9, a145
	v_fmac_f64_e32 v[0:1], v[8:9], v[102:103]
	s_waitcnt vmcnt(0)
	v_mul_f64 v[102:103], v[80:81], v[6:7]
	buffer_load_dword v6, off, s[20:23], 0 offset:480 ; 4-byte Folded Reload
	buffer_load_dword v7, off, s[20:23], 0 offset:484 ; 4-byte Folded Reload
	v_fmac_f64_e32 v[0:1], v[102:103], v[112:113]
	s_waitcnt vmcnt(0)
	v_mul_f64 v[102:103], v[64:65], v[6:7]
	buffer_load_dword v6, off, s[20:23], 0 offset:496 ; 4-byte Folded Reload
	buffer_load_dword v7, off, s[20:23], 0 offset:500 ; 4-byte Folded Reload
	v_fmac_f64_e32 v[0:1], v[102:103], v[116:117]
	v_pk_mov_b32 v[114:115], v[170:171], v[170:171] op_sel:[0,1]
	v_pk_mov_b32 v[116:117], v[172:173], v[172:173] op_sel:[0,1]
	v_accvgpr_read_b32 v170, a234
	v_accvgpr_read_b32 v171, a235
	;; [unrolled: 1-line block ×4, first 2 shown]
	s_waitcnt vmcnt(0)
	v_mul_f64 v[102:103], v[68:69], v[6:7]
	buffer_load_dword v6, off, s[20:23], 0 offset:512 ; 4-byte Folded Reload
	buffer_load_dword v7, off, s[20:23], 0 offset:516 ; 4-byte Folded Reload
	v_fmac_f64_e32 v[0:1], v[102:103], v[120:121]
	buffer_load_dword a192, off, s[20:23], 0 offset:840 ; 4-byte Folded Reload
	buffer_load_dword a193, off, s[20:23], 0 offset:844 ; 4-byte Folded Reload
	;; [unrolled: 1-line block ×6, first 2 shown]
	v_accvgpr_read_b32 v121, a11
	v_accvgpr_read_b32 v119, a9
	;; [unrolled: 1-line block ×4, first 2 shown]
	v_accvgpr_write_b32 a8, v54
	v_accvgpr_write_b32 a9, v55
	;; [unrolled: 1-line block ×4, first 2 shown]
	s_waitcnt vmcnt(6)
	v_mul_f64 v[102:103], v[72:73], v[6:7]
	v_accvgpr_read_b32 v6, a156
	v_accvgpr_read_b32 v8, a158
	;; [unrolled: 1-line block ×3, first 2 shown]
	v_fmac_f64_e32 v[0:1], v[102:103], v[8:9]
	v_accvgpr_read_b32 v8, a56
	v_accvgpr_read_b32 v7, a157
	v_mul_f64 v[102:103], v[76:77], v[164:165]
	v_accvgpr_read_b32 v9, a57
	v_fmac_f64_e32 v[0:1], v[102:103], v[116:117]
	v_mul_f64 v[102:103], v[80:81], v[8:9]
	v_accvgpr_read_b32 v6, a140
	v_fmac_f64_e32 v[0:1], v[102:103], v[46:47]
	;; [unrolled: 3-line block ×3, first 2 shown]
	v_mul_f64 v[102:103], v[68:69], v[6:7]
	v_accvgpr_read_b32 v6, a146
	v_accvgpr_read_b32 v7, a147
	v_fmac_f64_e32 v[0:1], v[102:103], v[50:51]
	v_mul_f64 v[102:103], v[72:73], v[6:7]
	v_accvgpr_read_b32 v6, a168
	v_accvgpr_read_b32 v7, a169
	v_fmac_f64_e32 v[0:1], v[102:103], v[52:53]
	;; [unrolled: 4-line block ×13, first 2 shown]
	v_mul_f64 v[102:103], v[80:81], v[6:7]
	v_fmac_f64_e32 v[0:1], v[102:103], v[44:45]
	v_accvgpr_read_b32 v42, a198
	v_accvgpr_read_b32 v43, a199
	;; [unrolled: 1-line block ×4, first 2 shown]
	buffer_load_dword a198, off, s[20:23], 0 offset:888 ; 4-byte Folded Reload
	buffer_load_dword a199, off, s[20:23], 0 offset:892 ; 4-byte Folded Reload
	s_waitcnt vmcnt(6)
	v_accvgpr_read_b32 v6, a192
	v_accvgpr_read_b32 v7, a193
	v_mul_f64 v[102:103], v[64:65], v[6:7]
	s_waitcnt vmcnt(4)
	v_accvgpr_read_b32 v6, a194
	buffer_load_dword a200, off, s[20:23], 0 offset:872 ; 4-byte Folded Reload
	buffer_load_dword a201, off, s[20:23], 0 offset:876 ; 4-byte Folded Reload
	v_accvgpr_read_b32 v7, a195
	v_fmac_f64_e32 v[0:1], v[42:43], v[102:103]
	v_mul_f64 v[102:103], v[68:69], v[6:7]
	s_waitcnt vmcnt(4)
	v_accvgpr_read_b32 v6, a196
	v_accvgpr_read_b32 v7, a197
	v_fmac_f64_e32 v[0:1], v[44:45], v[102:103]
	v_mul_f64 v[102:103], v[72:73], v[6:7]
	v_pk_mov_b32 v[42:43], v[214:215], v[214:215] op_sel:[0,1]
	v_pk_mov_b32 v[44:45], v[216:217], v[216:217] op_sel:[0,1]
	v_fmac_f64_e32 v[0:1], v[42:43], v[102:103]
	v_accvgpr_read_b32 v210, a218
	v_accvgpr_read_b32 v211, a219
	;; [unrolled: 1-line block ×16, first 2 shown]
	v_pk_mov_b32 v[192:193], v[162:163], v[162:163] op_sel:[0,1]
	v_pk_mov_b32 v[190:191], v[160:161], v[160:161] op_sel:[0,1]
	v_accvgpr_read_b32 v134, a250
	v_accvgpr_read_b32 v135, a251
	;; [unrolled: 1-line block ×4, first 2 shown]
	v_accvgpr_write_b32 a253, v145
	v_accvgpr_write_b32 a252, v144
	v_accvgpr_read_b32 v46, a120
	v_accvgpr_read_b32 v48, a122
	;; [unrolled: 1-line block ×4, first 2 shown]
	v_accvgpr_mov_b32 a57, a27
	v_accvgpr_mov_b32 a56, a26
	;; [unrolled: 1-line block ×4, first 2 shown]
	v_accvgpr_write_b32 a123, v21
	v_accvgpr_write_b32 a122, v20
	;; [unrolled: 1-line block ×8, first 2 shown]
	s_waitcnt vmcnt(2)
	v_accvgpr_read_b32 v6, a198
	v_accvgpr_read_b32 v7, a199
	v_mul_f64 v[102:103], v[76:77], v[6:7]
	v_fmac_f64_e32 v[0:1], v[44:45], v[102:103]
	v_pk_mov_b32 v[42:43], v[238:239], v[238:239] op_sel:[0,1]
	v_pk_mov_b32 v[44:45], v[240:241], v[240:241] op_sel:[0,1]
	;; [unrolled: 1-line block ×4, first 2 shown]
	v_accvgpr_read_b32 v249, a213
	v_accvgpr_read_b32 v248, a212
	;; [unrolled: 1-line block ×4, first 2 shown]
	buffer_load_dword a210, off, s[20:23], 0 offset:1304 ; 4-byte Folded Reload
	buffer_load_dword a211, off, s[20:23], 0 offset:1308 ; 4-byte Folded Reload
	;; [unrolled: 1-line block ×12, first 2 shown]
	s_waitcnt vmcnt(12)
	v_accvgpr_read_b32 v6, a200
	v_accvgpr_read_b32 v7, a201
	v_mul_f64 v[102:103], v[80:81], v[6:7]
	v_accvgpr_read_b32 v6, a202
	v_accvgpr_read_b32 v7, a203
	v_fmac_f64_e32 v[0:1], v[102:103], v[42:43]
	v_mul_f64 v[102:103], v[64:65], v[6:7]
	v_accvgpr_read_b32 v6, a204
	v_accvgpr_read_b32 v7, a205
	v_fmac_f64_e32 v[0:1], v[102:103], v[44:45]
	;; [unrolled: 4-line block ×4, first 2 shown]
	v_mul_f64 v[102:103], v[76:77], v[6:7]
	v_fmac_f64_e32 v[0:1], v[102:103], v[246:247]
	buffer_load_dword a230, off, s[20:23], 0 offset:1128 ; 4-byte Folded Reload
	buffer_load_dword a231, off, s[20:23], 0 offset:1132 ; 4-byte Folded Reload
	;; [unrolled: 1-line block ×8, first 2 shown]
	s_waitcnt vmcnt(18)
	v_accvgpr_read_b32 v6, a210
	v_accvgpr_read_b32 v7, a211
	v_mul_f64 v[102:103], v[80:81], v[6:7]
	s_waitcnt vmcnt(16)
	v_accvgpr_read_b32 v6, a212
	v_accvgpr_read_b32 v7, a213
	v_fmac_f64_e32 v[0:1], v[102:103], v[248:249]
	v_mul_f64 v[102:103], v[64:65], v[6:7]
	v_accvgpr_read_b32 v6, a214
	v_accvgpr_read_b32 v7, a215
	v_fmac_f64_e32 v[0:1], v[102:103], v[214:215]
	v_mul_f64 v[102:103], v[68:69], v[6:7]
	;; [unrolled: 4-line block ×3, first 2 shown]
	s_waitcnt vmcnt(14)
	v_accvgpr_read_b32 v6, a218
	v_accvgpr_read_b32 v7, a219
	v_fmac_f64_e32 v[0:1], v[102:103], v[210:211]
	v_mul_f64 v[102:103], v[76:77], v[6:7]
	s_waitcnt vmcnt(12)
	v_accvgpr_read_b32 v6, a220
	v_accvgpr_read_b32 v7, a221
	v_fmac_f64_e32 v[0:1], v[102:103], v[212:213]
	v_mul_f64 v[102:103], v[80:81], v[6:7]
	;; [unrolled: 5-line block ×4, first 2 shown]
	v_accvgpr_read_b32 v6, a226
	v_accvgpr_read_b32 v7, a227
	v_fmac_f64_e32 v[0:1], v[102:103], v[160:161]
	v_mul_f64 v[102:103], v[72:73], v[6:7]
	v_fmac_f64_e32 v[0:1], v[102:103], v[162:163]
	v_accvgpr_read_b32 v162, a238
	v_accvgpr_read_b32 v163, a239
	;; [unrolled: 1-line block ×4, first 2 shown]
	buffer_load_dword a238, off, s[20:23], 0 offset:1176 ; 4-byte Folded Reload
	buffer_load_dword a239, off, s[20:23], 0 offset:1180 ; 4-byte Folded Reload
	;; [unrolled: 1-line block ×4, first 2 shown]
	v_accvgpr_read_b32 v158, a242
	v_accvgpr_read_b32 v159, a243
	;; [unrolled: 1-line block ×4, first 2 shown]
	buffer_load_dword a242, off, s[20:23], 0 offset:952 ; 4-byte Folded Reload
	buffer_load_dword a243, off, s[20:23], 0 offset:956 ; 4-byte Folded Reload
	;; [unrolled: 1-line block ×4, first 2 shown]
	v_accvgpr_read_b32 v6, a228
	v_accvgpr_read_b32 v7, a229
	v_mul_f64 v[102:103], v[76:77], v[6:7]
	s_waitcnt vmcnt(14)
	v_accvgpr_read_b32 v6, a230
	v_accvgpr_read_b32 v7, a231
	v_fmac_f64_e32 v[0:1], v[102:103], v[194:195]
	v_mul_f64 v[102:103], v[80:81], v[6:7]
	s_waitcnt vmcnt(12)
	v_accvgpr_read_b32 v6, a232
	v_accvgpr_read_b32 v7, a233
	v_fmac_f64_e32 v[0:1], v[102:103], v[196:197]
	;; [unrolled: 5-line block ×4, first 2 shown]
	v_mul_f64 v[102:103], v[72:73], v[6:7]
	v_fmac_f64_e32 v[0:1], v[102:103], v[162:163]
	s_waitcnt vmcnt(6)
	v_accvgpr_read_b32 v6, a238
	v_accvgpr_read_b32 v7, a239
	v_mul_f64 v[102:103], v[76:77], v[6:7]
	s_waitcnt vmcnt(4)
	v_accvgpr_read_b32 v6, a240
	v_accvgpr_read_b32 v7, a241
	v_fmac_f64_e32 v[0:1], v[102:103], v[164:165]
	v_mul_f64 v[102:103], v[80:81], v[6:7]
	s_waitcnt vmcnt(2)
	v_accvgpr_read_b32 v6, a242
	v_accvgpr_read_b32 v7, a243
	v_fmac_f64_e32 v[0:1], v[102:103], v[158:159]
	;; [unrolled: 5-line block ×3, first 2 shown]
	v_mul_f64 v[102:103], v[68:69], v[6:7]
	v_accvgpr_read_b32 v6, a246
	v_accvgpr_read_b32 v7, a247
	v_fmac_f64_e32 v[0:1], v[134:135], v[102:103]
	v_mul_f64 v[102:103], v[72:73], v[6:7]
	v_pk_mov_b32 v[6:7], v[144:145], v[144:145] op_sel:[0,1]
	v_fmac_f64_e32 v[0:1], v[136:137], v[102:103]
	v_mul_f64 v[102:103], v[76:77], v[6:7]
	buffer_load_dword v6, off, s[20:23], 0 offset:920 ; 4-byte Folded Reload
	buffer_load_dword v7, off, s[20:23], 0 offset:924 ; 4-byte Folded Reload
	;; [unrolled: 1-line block ×12, first 2 shown]
	v_pk_mov_b32 v[144:145], v[142:143], v[142:143] op_sel:[0,1]
	v_pk_mov_b32 v[142:143], v[140:141], v[140:141] op_sel:[0,1]
	v_fmac_f64_e32 v[0:1], v[142:143], v[102:103]
	v_accvgpr_read_b32 v141, a131
	v_accvgpr_read_b32 v139, a129
	;; [unrolled: 1-line block ×4, first 2 shown]
	v_accvgpr_write_b32 a131, v35
	v_accvgpr_write_b32 a130, v34
	;; [unrolled: 1-line block ×4, first 2 shown]
	s_waitcnt vmcnt(10)
	v_mul_f64 v[102:103], v[80:81], v[6:7]
	s_waitcnt vmcnt(8)
	v_accvgpr_read_b32 v8, a40
	v_accvgpr_read_b32 v9, a41
	v_fmac_f64_e32 v[0:1], v[102:103], v[144:145]
	v_mul_f64 v[102:103], v[64:65], v[8:9]
	s_waitcnt vmcnt(6)
	v_accvgpr_read_b32 v8, a250
	v_accvgpr_read_b32 v9, a251
	v_fmac_f64_e32 v[0:1], v[102:103], v[122:123]
	;; [unrolled: 5-line block ×5, first 2 shown]
	v_mul_f64 v[102:103], v[80:81], v[8:9]
	v_accvgpr_read_b32 v8, a88
	v_accvgpr_read_b32 v9, a89
	v_fmac_f64_e32 v[0:1], v[102:103], v[126:127]
	v_mul_f64 v[102:103], v[64:65], v[8:9]
	v_accvgpr_read_b32 v8, a66
	v_accvgpr_read_b32 v9, a67
	v_fmac_f64_e32 v[0:1], v[102:103], v[128:129]
	v_mul_f64 v[102:103], v[68:69], v[8:9]
	v_accvgpr_read_b32 v8, a64
	v_accvgpr_read_b32 v9, a65
	buffer_load_dword a64, off, s[20:23], 0 offset:1080 ; 4-byte Folded Reload
	buffer_load_dword a65, off, s[20:23], 0 offset:1084 ; 4-byte Folded Reload
	v_fmac_f64_e32 v[0:1], v[102:103], v[130:131]
	v_mul_f64 v[102:103], v[72:73], v[8:9]
	v_fmac_f64_e32 v[0:1], v[102:103], v[132:133]
	s_waitcnt vmcnt(0)
	v_accvgpr_read_b32 v8, a64
	v_accvgpr_read_b32 v9, a65
	v_mul_f64 v[102:103], v[76:77], v[8:9]
	v_accvgpr_read_b32 v8, a78
	v_accvgpr_read_b32 v9, a79
	v_fmac_f64_e32 v[0:1], v[102:103], v[138:139]
	v_mul_f64 v[102:103], v[80:81], v[8:9]
	buffer_load_dword v8, off, s[20:23], 0 offset:96 ; 4-byte Folded Reload
	buffer_load_dword v9, off, s[20:23], 0 offset:100 ; 4-byte Folded Reload
	v_fmac_f64_e32 v[0:1], v[102:103], v[140:141]
	s_waitcnt vmcnt(0)
	v_mul_f64 v[102:103], v[64:65], v[8:9]
	buffer_load_dword v8, off, s[20:23], 0 offset:112 ; 4-byte Folded Reload
	buffer_load_dword v9, off, s[20:23], 0 offset:116 ; 4-byte Folded Reload
	v_fmac_f64_e32 v[0:1], v[102:103], v[146:147]
	s_waitcnt vmcnt(0)
	;; [unrolled: 5-line block ×6, first 2 shown]
	v_mul_f64 v[102:103], v[64:65], v[8:9]
	buffer_load_dword v8, off, s[20:23], 0 offset:176 ; 4-byte Folded Reload
	buffer_load_dword v9, off, s[20:23], 0 offset:180 ; 4-byte Folded Reload
	v_fmac_f64_e32 v[0:1], v[102:103], v[156:157]
	buffer_load_dword a76, off, s[20:23], 0 offset:1416 ; 4-byte Folded Reload
	buffer_load_dword a77, off, s[20:23], 0 offset:1420 ; 4-byte Folded Reload
	s_waitcnt vmcnt(2)
	v_mul_f64 v[102:103], v[68:69], v[8:9]
	v_accvgpr_read_b32 v8, a154
	v_accvgpr_read_b32 v9, a155
	v_fmac_f64_e32 v[0:1], v[102:103], v[166:167]
	v_mul_f64 v[102:103], v[72:73], v[8:9]
	v_accvgpr_read_b32 v8, a150
	v_accvgpr_read_b32 v9, a151
	v_fmac_f64_e32 v[0:1], v[102:103], v[168:169]
	;; [unrolled: 4-line block ×7, first 2 shown]
	v_mul_f64 v[102:103], v[76:77], v[8:9]
	v_accvgpr_read_b32 v8, a148
	v_accvgpr_read_b32 v9, a149
	buffer_load_dword a84, off, s[20:23], 0 offset:1384 ; 4-byte Folded Reload
	buffer_load_dword a85, off, s[20:23], 0 offset:1388 ; 4-byte Folded Reload
	v_fmac_f64_e32 v[0:1], v[184:185], v[102:103]
	v_mul_f64 v[102:103], v[80:81], v[8:9]
	v_accvgpr_read_b32 v8, a86
	v_accvgpr_read_b32 v9, a87
	buffer_load_dword a86, off, s[20:23], 0 offset:1240 ; 4-byte Folded Reload
	buffer_load_dword a87, off, s[20:23], 0 offset:1244 ; 4-byte Folded Reload
	;; [unrolled: 1-line block ×28, first 2 shown]
	v_fmac_f64_e32 v[0:1], v[102:103], v[186:187]
	v_mul_f64 v[102:103], v[64:65], v[8:9]
	s_waitcnt vmcnt(30)
	v_accvgpr_read_b32 v8, a76
	v_accvgpr_read_b32 v9, a77
	v_fmac_f64_e32 v[0:1], v[102:103], v[188:189]
	v_mul_f64 v[102:103], v[68:69], v[8:9]
	v_fmac_f64_e32 v[0:1], v[102:103], v[250:251]
	s_waitcnt vmcnt(28)
	v_accvgpr_read_b32 v8, a84
	v_accvgpr_read_b32 v9, a85
	v_mul_f64 v[102:103], v[72:73], v[8:9]
	v_fmac_f64_e32 v[0:1], v[102:103], v[252:253]
	s_waitcnt vmcnt(26)
	v_accvgpr_read_b32 v8, a86
	v_accvgpr_read_b32 v9, a87
	v_mul_f64 v[102:103], v[76:77], v[8:9]
	s_waitcnt vmcnt(24)
	v_accvgpr_read_b32 v8, a94
	v_accvgpr_read_b32 v9, a95
	v_fmac_f64_e32 v[0:1], v[102:103], v[242:243]
	v_mul_f64 v[102:103], v[80:81], v[8:9]
	s_waitcnt vmcnt(22)
	v_accvgpr_read_b32 v8, a148
	v_accvgpr_read_b32 v9, a149
	v_fmac_f64_e32 v[0:1], v[102:103], v[244:245]
	;; [unrolled: 5-line block ×13, first 2 shown]
	v_mul_f64 v[102:103], v[68:69], v[8:9]
	buffer_load_dword v68, off, s[20:23], 0 offset:1528 ; 4-byte Folded Reload
	buffer_load_dword v69, off, s[20:23], 0 offset:1532 ; 4-byte Folded Reload
	v_fmac_f64_e32 v[0:1], v[102:103], v[204:205]
	v_add_co_u32_e32 v8, vcc, s3, v26
	v_addc_co_u32_e32 v9, vcc, 0, v27, vcc
	v_pk_mov_b32 v[64:65], v[26:27], v[26:27] op_sel:[0,1]
	s_waitcnt vmcnt(0)
	v_mul_f64 v[102:103], v[72:73], v[68:69]
	buffer_load_dword v72, off, s[20:23], 0 offset:1544 ; 4-byte Folded Reload
	buffer_load_dword v73, off, s[20:23], 0 offset:1548 ; 4-byte Folded Reload
	v_fmac_f64_e32 v[0:1], v[102:103], v[198:199]
	s_waitcnt vmcnt(0)
	v_mul_f64 v[102:103], v[76:77], v[72:73]
	buffer_load_dword v76, off, s[20:23], 0 offset:1560 ; 4-byte Folded Reload
	buffer_load_dword v77, off, s[20:23], 0 offset:1564 ; 4-byte Folded Reload
	s_nop 0
	buffer_store_dword v8, off, s[20:23], 0 offset:1776 ; 4-byte Folded Spill
	s_nop 0
	buffer_store_dword v9, off, s[20:23], 0 offset:1780 ; 4-byte Folded Spill
	v_add_co_u32_e32 v8, vcc, s7, v26
	v_addc_co_u32_e32 v9, vcc, 0, v27, vcc
	buffer_store_dword v8, off, s[20:23], 0 offset:1768 ; 4-byte Folded Spill
	s_nop 0
	buffer_store_dword v9, off, s[20:23], 0 offset:1772 ; 4-byte Folded Spill
	v_fmac_f64_e32 v[0:1], v[102:103], v[200:201]
	s_waitcnt vmcnt(4)
	v_mul_f64 v[102:103], v[80:81], v[76:77]
	v_fmac_f64_e32 v[0:1], v[102:103], v[48:49]
	v_accvgpr_read_b32 v80, a98
	v_accvgpr_read_b32 v82, a100
	;; [unrolled: 1-line block ×3, first 2 shown]
	global_store_dwordx2 v[8:9], v[0:1], off offset:-4096
	buffer_load_dword v42, off, s[20:23], 0 offset:3124 ; 4-byte Folded Reload
	buffer_load_dword v43, off, s[20:23], 0 offset:3128 ; 4-byte Folded Reload
	;; [unrolled: 1-line block ×4, first 2 shown]
	v_accvgpr_read_b32 v8, a12
	v_accvgpr_read_b32 v9, a13
	;; [unrolled: 1-line block ×3, first 2 shown]
	v_accvgpr_write_b32 a101, v89
	v_accvgpr_write_b32 a100, v88
	;; [unrolled: 1-line block ×8, first 2 shown]
	s_waitcnt vmcnt(2)
	v_mul_f64 v[0:1], v[42:43], v[36:37]
	v_fma_f64 v[0:1], v[46:47], v[0:1], 0
	buffer_load_dword v46, off, s[20:23], 0 offset:3156 ; 4-byte Folded Reload
	buffer_load_dword v47, off, s[20:23], 0 offset:3160 ; 4-byte Folded Reload
	;; [unrolled: 1-line block ×4, first 2 shown]
	s_waitcnt vmcnt(2)
	v_mul_f64 v[36:37], v[46:47], v[8:9]
	buffer_load_dword v50, off, s[20:23], 0 offset:3188 ; 4-byte Folded Reload
	buffer_load_dword v51, off, s[20:23], 0 offset:3192 ; 4-byte Folded Reload
	;; [unrolled: 1-line block ×6, first 2 shown]
	v_fmac_f64_e32 v[0:1], v[12:13], v[36:37]
	s_waitcnt vmcnt(0)
	v_mul_f64 v[36:37], v[50:51], v[8:9]
	v_fmac_f64_e32 v[0:1], v[56:57], v[36:37]
	buffer_load_dword v54, off, s[20:23], 0 offset:3220 ; 4-byte Folded Reload
	buffer_load_dword v55, off, s[20:23], 0 offset:3224 ; 4-byte Folded Reload
	;; [unrolled: 1-line block ×6, first 2 shown]
	s_waitcnt vmcnt(0)
	v_mul_f64 v[36:37], v[54:55], v[8:9]
	buffer_load_dword v58, off, s[20:23], 0 offset:3236 ; 4-byte Folded Reload
	buffer_load_dword v59, off, s[20:23], 0 offset:3240 ; 4-byte Folded Reload
	;; [unrolled: 1-line block ×8, first 2 shown]
	v_fmac_f64_e32 v[0:1], v[16:17], v[36:37]
	s_waitcnt vmcnt(2)
	v_mul_f64 v[36:37], v[58:59], v[8:9]
	v_fmac_f64_e32 v[0:1], v[36:37], v[4:5]
	s_waitcnt vmcnt(0)
	v_mul_f64 v[36:37], v[42:43], v[2:3]
	buffer_load_dword v2, off, s[20:23], 0  ; 4-byte Folded Reload
	buffer_load_dword v3, off, s[20:23], 0 offset:4 ; 4-byte Folded Reload
	buffer_load_dword v4, off, s[20:23], 0 offset:8 ; 4-byte Folded Reload
	;; [unrolled: 1-line block ×3, first 2 shown]
	s_waitcnt vmcnt(2)
	v_accvgpr_read_b32 v2, a18
	v_accvgpr_read_b32 v3, a19
	v_accvgpr_write_b32 a16, v22
	v_accvgpr_write_b32 a17, v23
	;; [unrolled: 1-line block ×4, first 2 shown]
	s_waitcnt vmcnt(0)
	v_fmac_f64_e32 v[0:1], v[36:37], v[4:5]
	v_mul_f64 v[36:37], v[46:47], v[2:3]
	buffer_load_dword v2, off, s[20:23], 0 offset:1624 ; 4-byte Folded Reload
	buffer_load_dword v3, off, s[20:23], 0 offset:1628 ; 4-byte Folded Reload
	v_fmac_f64_e32 v[0:1], v[36:37], v[24:25]
	s_waitcnt vmcnt(0)
	v_mul_f64 v[36:37], v[50:51], v[2:3]
	buffer_load_dword v2, off, s[20:23], 0 offset:1640 ; 4-byte Folded Reload
	buffer_load_dword v3, off, s[20:23], 0 offset:1644 ; 4-byte Folded Reload
	v_fmac_f64_e32 v[0:1], v[36:37], v[34:35]
	s_waitcnt vmcnt(0)
	;; [unrolled: 5-line block ×4, first 2 shown]
	v_mul_f64 v[36:37], v[42:43], v[2:3]
	buffer_load_dword v2, off, s[20:23], 0 offset:80 ; 4-byte Folded Reload
	buffer_load_dword v3, off, s[20:23], 0 offset:84 ; 4-byte Folded Reload
	v_fmac_f64_e32 v[0:1], v[36:37], v[82:83]
	v_accvgpr_read_b32 v82, a114
	v_accvgpr_read_b32 v84, a116
	;; [unrolled: 1-line block ×4, first 2 shown]
	s_waitcnt vmcnt(0)
	v_mul_f64 v[36:37], v[46:47], v[2:3]
	v_accvgpr_read_b32 v2, a46
	v_accvgpr_read_b32 v3, a47
	;; [unrolled: 1-line block ×6, first 2 shown]
	v_fmac_f64_e32 v[0:1], v[36:37], v[4:5]
	v_mul_f64 v[36:37], v[50:51], v[2:3]
	v_accvgpr_read_b32 v2, a20
	v_accvgpr_read_b32 v3, a21
	buffer_load_dword v2, off, s[20:23], 0 offset:224 ; 4-byte Folded Reload
	buffer_load_dword v3, off, s[20:23], 0 offset:228 ; 4-byte Folded Reload
	v_accvgpr_read_b32 v4, a22
	v_accvgpr_read_b32 v5, a23
	v_fmac_f64_e32 v[0:1], v[36:37], v[4:5]
	v_accvgpr_mov_b32 a49, a23
	v_accvgpr_mov_b32 a48, a22
	;; [unrolled: 1-line block ×4, first 2 shown]
	v_accvgpr_write_b32 a20, v106
	v_accvgpr_write_b32 a21, v107
	;; [unrolled: 1-line block ×4, first 2 shown]
	s_waitcnt vmcnt(0)
	v_mul_f64 v[36:37], v[54:55], v[2:3]
	v_accvgpr_read_b32 v2, a68
	v_accvgpr_read_b32 v3, a69
	v_fmac_f64_e32 v[0:1], v[36:37], v[88:89]
	v_mul_f64 v[36:37], v[58:59], v[2:3]
	v_accvgpr_read_b32 v2, a24
	v_accvgpr_read_b32 v3, a25
	buffer_load_dword v2, off, s[20:23], 0 offset:240 ; 4-byte Folded Reload
	buffer_load_dword v3, off, s[20:23], 0 offset:244 ; 4-byte Folded Reload
	v_accvgpr_read_b32 v4, a26
	v_accvgpr_read_b32 v5, a27
	v_fmac_f64_e32 v[0:1], v[36:37], v[4:5]
	v_accvgpr_read_b32 v86, a90
	v_accvgpr_read_b32 v88, a92
	;; [unrolled: 1-line block ×4, first 2 shown]
	v_accvgpr_mov_b32 a93, a31
	v_accvgpr_write_b32 a68, v90
	v_accvgpr_mov_b32 a92, a30
	v_accvgpr_mov_b32 a91, a29
	;; [unrolled: 1-line block ×3, first 2 shown]
	v_accvgpr_write_b32 a69, v91
	v_accvgpr_write_b32 a70, v92
	v_accvgpr_write_b32 a71, v93
	v_accvgpr_write_b32 a24, v98
	v_accvgpr_write_b32 a25, v99
	v_accvgpr_write_b32 a26, v100
	v_accvgpr_write_b32 a27, v101
	s_waitcnt vmcnt(0)
	v_mul_f64 v[36:37], v[42:43], v[2:3]
	buffer_load_dword v2, off, s[20:23], 0 offset:256 ; 4-byte Folded Reload
	buffer_load_dword v3, off, s[20:23], 0 offset:260 ; 4-byte Folded Reload
	v_fmac_f64_e32 v[0:1], v[36:37], v[88:89]
	v_accvgpr_read_b32 v91, a75
	v_accvgpr_read_b32 v90, a74
	;; [unrolled: 1-line block ×4, first 2 shown]
	s_waitcnt vmcnt(0)
	v_mul_f64 v[36:37], v[46:47], v[2:3]
	buffer_load_dword v2, off, s[20:23], 0 offset:272 ; 4-byte Folded Reload
	buffer_load_dword v3, off, s[20:23], 0 offset:276 ; 4-byte Folded Reload
	v_fmac_f64_e32 v[0:1], v[36:37], v[92:93]
	s_waitcnt vmcnt(0)
	v_mul_f64 v[36:37], v[50:51], v[2:3]
	v_accvgpr_read_b32 v2, a28
	v_accvgpr_read_b32 v3, a29
	buffer_load_dword v2, off, s[20:23], 0 offset:288 ; 4-byte Folded Reload
	buffer_load_dword v3, off, s[20:23], 0 offset:292 ; 4-byte Folded Reload
	v_accvgpr_read_b32 v4, a30
	v_accvgpr_read_b32 v5, a31
	v_fmac_f64_e32 v[0:1], v[36:37], v[4:5]
	v_accvgpr_write_b32 a28, v94
	v_accvgpr_write_b32 a29, v95
	;; [unrolled: 1-line block ×4, first 2 shown]
	v_accvgpr_read_b32 v95, a35
	v_accvgpr_read_b32 v94, a34
	;; [unrolled: 1-line block ×4, first 2 shown]
	v_accvgpr_write_b32 a32, v110
	v_accvgpr_write_b32 a33, v111
	;; [unrolled: 1-line block ×4, first 2 shown]
	s_waitcnt vmcnt(0)
	v_mul_f64 v[36:37], v[54:55], v[2:3]
	buffer_load_dword v2, off, s[20:23], 0 offset:304 ; 4-byte Folded Reload
	buffer_load_dword v3, off, s[20:23], 0 offset:308 ; 4-byte Folded Reload
	v_fmac_f64_e32 v[0:1], v[36:37], v[96:97]
	s_waitcnt vmcnt(0)
	v_mul_f64 v[36:37], v[58:59], v[2:3]
	buffer_load_dword v2, off, s[20:23], 0 offset:336 ; 4-byte Folded Reload
	buffer_load_dword v3, off, s[20:23], 0 offset:340 ; 4-byte Folded Reload
	v_fmac_f64_e32 v[0:1], v[36:37], v[94:95]
	v_accvgpr_read_b32 v97, a83
	v_accvgpr_read_b32 v96, a82
	;; [unrolled: 1-line block ×4, first 2 shown]
	s_waitcnt vmcnt(0)
	v_mul_f64 v[36:37], v[42:43], v[2:3]
	buffer_load_dword v2, off, s[20:23], 0 offset:320 ; 4-byte Folded Reload
	buffer_load_dword v3, off, s[20:23], 0 offset:324 ; 4-byte Folded Reload
	v_fmac_f64_e32 v[0:1], v[36:37], v[96:97]
	v_accvgpr_read_b32 v96, a160
	v_accvgpr_read_b32 v98, a162
	;; [unrolled: 1-line block ×4, first 2 shown]
	s_waitcnt vmcnt(0)
	v_mul_f64 v[36:37], v[46:47], v[2:3]
	buffer_load_dword v2, off, s[20:23], 0 offset:368 ; 4-byte Folded Reload
	buffer_load_dword v3, off, s[20:23], 0 offset:372 ; 4-byte Folded Reload
	v_fmac_f64_e32 v[0:1], v[36:37], v[100:101]
	s_waitcnt vmcnt(0)
	v_mul_f64 v[36:37], v[50:51], v[2:3]
	buffer_load_dword v2, off, s[20:23], 0 offset:352 ; 4-byte Folded Reload
	buffer_load_dword v3, off, s[20:23], 0 offset:356 ; 4-byte Folded Reload
	v_fmac_f64_e32 v[0:1], v[36:37], v[98:99]
	buffer_load_dword v98, off, s[20:23], 0 offset:16 ; 4-byte Folded Reload
	buffer_load_dword v99, off, s[20:23], 0 offset:20 ; 4-byte Folded Reload
	;; [unrolled: 1-line block ×4, first 2 shown]
	s_waitcnt vmcnt(4)
	v_mul_f64 v[36:37], v[54:55], v[2:3]
	buffer_load_dword v2, off, s[20:23], 0 offset:432 ; 4-byte Folded Reload
	buffer_load_dword v3, off, s[20:23], 0 offset:436 ; 4-byte Folded Reload
	s_waitcnt vmcnt(2)
	v_fmac_f64_e32 v[0:1], v[36:37], v[100:101]
	buffer_load_dword v100, off, s[20:23], 0 offset:32 ; 4-byte Folded Reload
	buffer_load_dword v101, off, s[20:23], 0 offset:36 ; 4-byte Folded Reload
	;; [unrolled: 1-line block ×4, first 2 shown]
	s_waitcnt vmcnt(4)
	v_mul_f64 v[36:37], v[58:59], v[2:3]
	buffer_load_dword v2, off, s[20:23], 0 offset:400 ; 4-byte Folded Reload
	buffer_load_dword v3, off, s[20:23], 0 offset:404 ; 4-byte Folded Reload
	s_waitcnt vmcnt(2)
	v_fmac_f64_e32 v[0:1], v[36:37], v[102:103]
	s_waitcnt vmcnt(0)
	v_mul_f64 v[36:37], v[42:43], v[2:3]
	buffer_load_dword v2, off, s[20:23], 0 offset:384 ; 4-byte Folded Reload
	buffer_load_dword v3, off, s[20:23], 0 offset:388 ; 4-byte Folded Reload
	v_fmac_f64_e32 v[0:1], v[90:91], v[36:37]
	s_waitcnt vmcnt(0)
	v_mul_f64 v[36:37], v[46:47], v[2:3]
	buffer_load_dword v2, off, s[20:23], 0 offset:48 ; 4-byte Folded Reload
	buffer_load_dword v3, off, s[20:23], 0 offset:52 ; 4-byte Folded Reload
	;; [unrolled: 1-line block ×4, first 2 shown]
	s_waitcnt vmcnt(0)
	v_accvgpr_write_b32 a75, v5
	v_accvgpr_write_b32 a74, v4
	;; [unrolled: 1-line block ×4, first 2 shown]
	buffer_load_dword v2, off, s[20:23], 0 offset:448 ; 4-byte Folded Reload
	buffer_load_dword v3, off, s[20:23], 0 offset:452 ; 4-byte Folded Reload
	v_fmac_f64_e32 v[0:1], v[4:5], v[36:37]
	s_waitcnt vmcnt(0)
	v_mul_f64 v[36:37], v[50:51], v[2:3]
	buffer_load_dword v2, off, s[20:23], 0 offset:416 ; 4-byte Folded Reload
	buffer_load_dword v3, off, s[20:23], 0 offset:420 ; 4-byte Folded Reload
	v_fmac_f64_e32 v[0:1], v[108:109], v[36:37]
	v_accvgpr_read_b32 v106, a142
	v_accvgpr_read_b32 v108, a144
	;; [unrolled: 1-line block ×4, first 2 shown]
	s_waitcnt vmcnt(0)
	v_mul_f64 v[36:37], v[54:55], v[2:3]
	buffer_load_dword v2, off, s[20:23], 0 offset:464 ; 4-byte Folded Reload
	buffer_load_dword v3, off, s[20:23], 0 offset:468 ; 4-byte Folded Reload
	v_fmac_f64_e32 v[0:1], v[108:109], v[36:37]
	v_accvgpr_read_b32 v111, a45
	v_accvgpr_read_b32 v110, a44
	;; [unrolled: 1-line block ×4, first 2 shown]
	s_waitcnt vmcnt(0)
	v_mul_f64 v[36:37], v[58:59], v[2:3]
	buffer_load_dword v2, off, s[20:23], 0 offset:480 ; 4-byte Folded Reload
	buffer_load_dword v3, off, s[20:23], 0 offset:484 ; 4-byte Folded Reload
	v_fmac_f64_e32 v[0:1], v[36:37], v[112:113]
	s_waitcnt vmcnt(0)
	v_mul_f64 v[36:37], v[42:43], v[2:3]
	buffer_load_dword v2, off, s[20:23], 0 offset:496 ; 4-byte Folded Reload
	buffer_load_dword v3, off, s[20:23], 0 offset:500 ; 4-byte Folded Reload
	v_fmac_f64_e32 v[0:1], v[36:37], v[84:85]
	;; [unrolled: 5-line block ×3, first 2 shown]
	v_accvgpr_read_b32 v110, a156
	v_accvgpr_read_b32 v112, a158
	;; [unrolled: 1-line block ×4, first 2 shown]
	s_waitcnt vmcnt(0)
	v_mul_f64 v[36:37], v[50:51], v[2:3]
	buffer_load_dword v2, off, s[20:23], 0 offset:1704 ; 4-byte Folded Reload
	buffer_load_dword v3, off, s[20:23], 0 offset:1708 ; 4-byte Folded Reload
	v_fmac_f64_e32 v[0:1], v[36:37], v[112:113]
	s_waitcnt vmcnt(0)
	v_mul_f64 v[36:37], v[54:55], v[2:3]
	buffer_load_dword v2, off, s[20:23], 0 offset:1688 ; 4-byte Folded Reload
	buffer_load_dword v3, off, s[20:23], 0 offset:1692 ; 4-byte Folded Reload
	v_fmac_f64_e32 v[0:1], v[36:37], v[116:117]
	s_waitcnt vmcnt(0)
	v_mul_f64 v[36:37], v[58:59], v[2:3]
	buffer_load_dword v2, off, s[20:23], 0 offset:568 ; 4-byte Folded Reload
	buffer_load_dword v3, off, s[20:23], 0 offset:572 ; 4-byte Folded Reload
	;; [unrolled: 1-line block ×4, first 2 shown]
	s_waitcnt vmcnt(2)
	v_fmac_f64_e32 v[0:1], v[36:37], v[2:3]
	buffer_load_dword v2, off, s[20:23], 0 offset:1720 ; 4-byte Folded Reload
	buffer_load_dword v3, off, s[20:23], 0 offset:1724 ; 4-byte Folded Reload
	s_waitcnt vmcnt(0)
	v_mul_f64 v[36:37], v[42:43], v[2:3]
	v_accvgpr_read_b32 v2, a140
	v_accvgpr_read_b32 v3, a141
	v_fmac_f64_e32 v[0:1], v[36:37], v[4:5]
	v_mul_f64 v[36:37], v[46:47], v[2:3]
	buffer_load_dword v2, off, s[20:23], 0 offset:584 ; 4-byte Folded Reload
	buffer_load_dword v3, off, s[20:23], 0 offset:588 ; 4-byte Folded Reload
	buffer_load_dword v4, off, s[20:23], 0 offset:592 ; 4-byte Folded Reload
	buffer_load_dword v5, off, s[20:23], 0 offset:596 ; 4-byte Folded Reload
	s_waitcnt vmcnt(2)
	v_fmac_f64_e32 v[0:1], v[36:37], v[2:3]
	v_accvgpr_read_b32 v2, a146
	v_accvgpr_read_b32 v3, a147
	v_mul_f64 v[36:37], v[50:51], v[2:3]
	v_accvgpr_read_b32 v2, a168
	v_accvgpr_read_b32 v3, a169
	s_waitcnt vmcnt(0)
	v_fmac_f64_e32 v[0:1], v[36:37], v[4:5]
	v_mul_f64 v[36:37], v[54:55], v[2:3]
	buffer_load_dword v2, off, s[20:23], 0 offset:600 ; 4-byte Folded Reload
	buffer_load_dword v3, off, s[20:23], 0 offset:604 ; 4-byte Folded Reload
	buffer_load_dword v4, off, s[20:23], 0 offset:608 ; 4-byte Folded Reload
	buffer_load_dword v5, off, s[20:23], 0 offset:612 ; 4-byte Folded Reload
	s_waitcnt vmcnt(2)
	v_fmac_f64_e32 v[0:1], v[36:37], v[2:3]
	v_accvgpr_read_b32 v2, a170
	v_accvgpr_read_b32 v3, a171
	v_mul_f64 v[36:37], v[58:59], v[2:3]
	v_accvgpr_read_b32 v2, a172
	v_accvgpr_read_b32 v3, a173
	s_waitcnt vmcnt(0)
	;; [unrolled: 14-line block ×6, first 2 shown]
	v_fmac_f64_e32 v[0:1], v[36:37], v[4:5]
	v_mul_f64 v[36:37], v[54:55], v[2:3]
	v_accvgpr_read_b32 v2, a164
	v_accvgpr_read_b32 v3, a165
	v_fmac_f64_e32 v[0:1], v[36:37], v[2:3]
	v_accvgpr_read_b32 v2, a190
	v_accvgpr_read_b32 v3, a191
	v_mul_f64 v[36:37], v[58:59], v[2:3]
	v_accvgpr_read_b32 v2, a192
	v_accvgpr_read_b32 v4, a166
	v_accvgpr_read_b32 v5, a167
	v_accvgpr_read_b32 v3, a193
	v_fmac_f64_e32 v[0:1], v[36:37], v[4:5]
	v_mul_f64 v[36:37], v[42:43], v[2:3]
	v_accvgpr_read_b32 v2, a136
	v_accvgpr_read_b32 v3, a137
	v_fmac_f64_e32 v[0:1], v[2:3], v[36:37]
	v_accvgpr_read_b32 v2, a194
	v_accvgpr_read_b32 v3, a195
	v_mul_f64 v[36:37], v[46:47], v[2:3]
	v_accvgpr_read_b32 v2, a196
	v_accvgpr_read_b32 v4, a138
	v_accvgpr_read_b32 v5, a139
	v_accvgpr_read_b32 v3, a197
	;; [unrolled: 12-line block ×4, first 2 shown]
	v_fmac_f64_e32 v[0:1], v[36:37], v[4:5]
	v_mul_f64 v[36:37], v[46:47], v[2:3]
	v_accvgpr_read_b32 v2, a206
	v_accvgpr_read_b32 v3, a207
	v_fmac_f64_e32 v[0:1], v[36:37], v[238:239]
	v_mul_f64 v[36:37], v[50:51], v[2:3]
	v_accvgpr_read_b32 v2, a208
	v_accvgpr_read_b32 v3, a209
	;; [unrolled: 4-line block ×22, first 2 shown]
	v_fmac_f64_e32 v[0:1], v[136:137], v[36:37]
	v_mul_f64 v[36:37], v[54:55], v[2:3]
	v_accvgpr_read_b32 v2, a40
	v_fmac_f64_e32 v[0:1], v[142:143], v[36:37]
	v_mul_f64 v[36:37], v[58:59], v[6:7]
	v_accvgpr_read_b32 v3, a41
	;; [unrolled: 3-line block ×3, first 2 shown]
	v_accvgpr_read_b32 v3, a251
	v_fmac_f64_e32 v[0:1], v[36:37], v[122:123]
	v_mul_f64 v[36:37], v[46:47], v[2:3]
	v_accvgpr_read_b32 v2, a58
	v_accvgpr_read_b32 v3, a59
	v_fmac_f64_e32 v[0:1], v[36:37], v[124:125]
	v_mul_f64 v[36:37], v[50:51], v[2:3]
	v_accvgpr_read_b32 v2, a60
	;; [unrolled: 4-line block ×5, first 2 shown]
	v_accvgpr_read_b32 v3, a67
	v_fmac_f64_e32 v[0:1], v[36:37], v[128:129]
	v_mul_f64 v[36:37], v[46:47], v[2:3]
	buffer_load_dword v2, off, s[20:23], 0 offset:1856 ; 4-byte Folded Reload
	buffer_load_dword v3, off, s[20:23], 0 offset:1860 ; 4-byte Folded Reload
	v_fmac_f64_e32 v[0:1], v[36:37], v[130:131]
	v_mul_f64 v[6:7], v[50:51], v[68:69]
	v_mul_f64 v[4:5], v[54:55], v[72:73]
	v_add_co_u32_e32 v192, vcc, s4, v64
	v_addc_co_u32_e32 v193, vcc, 0, v65, vcc
	v_add_co_u32_e32 v158, vcc, s8, v64
	v_addc_co_u32_e32 v159, vcc, 0, v65, vcc
	v_pk_mov_b32 v[128:129], v[64:65], v[64:65] op_sel:[0,1]
	s_waitcnt vmcnt(0)
	v_mul_f64 v[36:37], v[50:51], v[2:3]
	v_accvgpr_read_b32 v2, a64
	v_accvgpr_read_b32 v3, a65
	v_fmac_f64_e32 v[0:1], v[36:37], v[132:133]
	v_mul_f64 v[36:37], v[54:55], v[2:3]
	v_accvgpr_read_b32 v2, a78
	v_accvgpr_read_b32 v3, a79
	v_fmac_f64_e32 v[0:1], v[36:37], v[138:139]
	v_mul_f64 v[36:37], v[58:59], v[2:3]
	buffer_load_dword v2, off, s[20:23], 0 offset:96 ; 4-byte Folded Reload
	buffer_load_dword v3, off, s[20:23], 0 offset:100 ; 4-byte Folded Reload
	v_fmac_f64_e32 v[0:1], v[36:37], v[140:141]
	s_waitcnt vmcnt(0)
	v_mul_f64 v[36:37], v[42:43], v[2:3]
	buffer_load_dword v2, off, s[20:23], 0 offset:112 ; 4-byte Folded Reload
	buffer_load_dword v3, off, s[20:23], 0 offset:116 ; 4-byte Folded Reload
	v_fmac_f64_e32 v[0:1], v[36:37], v[146:147]
	s_waitcnt vmcnt(0)
	;; [unrolled: 5-line block ×16, first 2 shown]
	v_mul_f64 v[36:37], v[42:43], v[2:3]
	v_accvgpr_read_b32 v2, a76
	v_accvgpr_read_b32 v3, a77
	v_fmac_f64_e32 v[0:1], v[36:37], v[188:189]
	v_mul_f64 v[36:37], v[46:47], v[2:3]
	v_accvgpr_read_b32 v2, a84
	v_accvgpr_read_b32 v3, a85
	v_fmac_f64_e32 v[0:1], v[36:37], v[250:251]
	v_mul_f64 v[36:37], v[50:51], v[2:3]
	v_accvgpr_read_b32 v2, a86
	v_accvgpr_read_b32 v3, a87
	v_mul_f64 v[34:35], v[54:55], v[2:3]
	v_accvgpr_read_b32 v2, a94
	v_accvgpr_read_b32 v3, a95
	;; [unrolled: 3-line block ×3, first 2 shown]
	v_mul_f64 v[26:27], v[42:43], v[2:3]
	v_accvgpr_read_b32 v2, a154
	v_fmac_f64_e32 v[0:1], v[36:37], v[252:253]
	v_accvgpr_read_b32 v3, a155
	v_fmac_f64_e32 v[0:1], v[34:35], v[242:243]
	v_mul_f64 v[24:25], v[46:47], v[2:3]
	v_accvgpr_read_b32 v2, a150
	v_fmac_f64_e32 v[0:1], v[32:33], v[244:245]
	v_accvgpr_read_b32 v3, a151
	v_fmac_f64_e32 v[0:1], v[26:27], v[234:235]
	;; [unrolled: 5-line block ×3, first 2 shown]
	v_mul_f64 v[22:23], v[54:55], v[2:3]
	v_accvgpr_read_b32 v2, a248
	v_accvgpr_read_b32 v3, a249
	v_fmac_f64_e32 v[0:1], v[22:23], v[232:233]
	v_mul_f64 v[22:23], v[58:59], v[2:3]
	v_accvgpr_read_b32 v2, a96
	v_accvgpr_read_b32 v3, a97
	v_mul_f64 v[20:21], v[42:43], v[2:3]
	v_accvgpr_read_b32 v2, a102
	v_accvgpr_read_b32 v3, a103
	;; [unrolled: 3-line block ×4, first 2 shown]
	v_fmac_f64_e32 v[0:1], v[22:23], v[226:227]
	v_mul_f64 v[14:15], v[54:55], v[2:3]
	v_accvgpr_read_b32 v2, a112
	v_fmac_f64_e32 v[0:1], v[20:21], v[228:229]
	v_accvgpr_read_b32 v3, a113
	v_fmac_f64_e32 v[0:1], v[18:19], v[222:223]
	v_mul_f64 v[12:13], v[58:59], v[2:3]
	v_accvgpr_read_b32 v2, a118
	v_fmac_f64_e32 v[0:1], v[16:17], v[224:225]
	v_accvgpr_read_b32 v3, a119
	;; [unrolled: 5-line block ×3, first 2 shown]
	v_fmac_f64_e32 v[0:1], v[10:11], v[202:203]
	v_mul_f64 v[8:9], v[46:47], v[2:3]
	v_fmac_f64_e32 v[0:1], v[8:9], v[204:205]
	v_fmac_f64_e32 v[0:1], v[6:7], v[198:199]
	;; [unrolled: 1-line block ×3, first 2 shown]
	v_accvgpr_read_b32 v4, a36
	v_mul_f64 v[2:3], v[58:59], v[76:77]
	v_accvgpr_read_b32 v6, a38
	v_accvgpr_read_b32 v7, a39
	v_fmac_f64_e32 v[0:1], v[2:3], v[6:7]
	global_store_dwordx2 v[158:159], v[0:1], off offset:-4096
	buffer_load_dword v0, off, s[20:23], 0 offset:696 ; 4-byte Folded Reload
	s_nop 0
	buffer_load_dword v1, off, s[20:23], 0 offset:700 ; 4-byte Folded Reload
	v_accvgpr_read_b32 v5, a37
	v_accvgpr_read_b32 v4, a12
	;; [unrolled: 1-line block ×9, first 2 shown]
	s_waitcnt vmcnt(0)
	v_mul_f64 v[2:3], v[62:63], v[0:1]
	v_mul_f64 v[0:1], v[28:29], v[2:3]
	;; [unrolled: 1-line block ×3, first 2 shown]
	v_fma_f64 v[0:1], v[4:5], v[0:1], 0
	v_mul_f64 v[4:5], v[30:31], v[2:3]
	v_mul_f64 v[4:5], v[48:49], v[4:5]
	v_fmac_f64_e32 v[0:1], v[6:7], v[4:5]
	v_mul_f64 v[4:5], v[38:39], v[2:3]
	v_accvgpr_read_b32 v9, a7
	v_mul_f64 v[4:5], v[52:53], v[4:5]
	v_accvgpr_read_b32 v8, a6
	v_accvgpr_read_b32 v7, a5
	;; [unrolled: 1-line block ×3, first 2 shown]
	v_fmac_f64_e32 v[0:1], v[6:7], v[4:5]
	v_mul_f64 v[4:5], v[40:41], v[2:3]
	v_accvgpr_read_b32 v9, a3
	v_mul_f64 v[4:5], v[56:57], v[4:5]
	v_accvgpr_read_b32 v7, a1
	v_accvgpr_read_b32 v6, a0
	v_fmac_f64_e32 v[0:1], v[6:7], v[4:5]
	buffer_load_dword v4, off, s[20:23], 0  ; 4-byte Folded Reload
	buffer_load_dword v5, off, s[20:23], 0 offset:4 ; 4-byte Folded Reload
	buffer_load_dword v6, off, s[20:23], 0 offset:8 ; 4-byte Folded Reload
	;; [unrolled: 1-line block ×3, first 2 shown]
	v_mul_f64 v[2:3], v[104:105], v[2:3]
	v_mul_f64 v[2:3], v[60:61], v[2:3]
	v_accvgpr_read_b32 v8, a2
	s_waitcnt vmcnt(0)
	v_accvgpr_read_b32 v6, a16
	v_accvgpr_read_b32 v7, a17
	;; [unrolled: 1-line block ×4, first 2 shown]
	v_fmac_f64_e32 v[0:1], v[2:3], v[4:5]
	buffer_load_dword v2, off, s[20:23], 0 offset:728 ; 4-byte Folded Reload
	buffer_load_dword v3, off, s[20:23], 0 offset:732 ; 4-byte Folded Reload
	s_waitcnt vmcnt(0)
	v_mul_f64 v[2:3], v[66:67], v[2:3]
	v_mul_f64 v[4:5], v[28:29], v[2:3]
	;; [unrolled: 1-line block ×3, first 2 shown]
	v_fmac_f64_e32 v[0:1], v[4:5], v[6:7]
	v_mul_f64 v[4:5], v[30:31], v[2:3]
	v_accvgpr_read_b32 v6, a128
	v_mul_f64 v[4:5], v[48:49], v[4:5]
	v_accvgpr_read_b32 v7, a129
	v_accvgpr_read_b32 v8, a130
	;; [unrolled: 1-line block ×3, first 2 shown]
	v_fmac_f64_e32 v[0:1], v[4:5], v[6:7]
	v_mul_f64 v[4:5], v[38:39], v[2:3]
	v_accvgpr_read_b32 v6, a108
	v_mul_f64 v[4:5], v[52:53], v[4:5]
	v_accvgpr_read_b32 v7, a109
	v_accvgpr_read_b32 v8, a110
	;; [unrolled: 1-line block ×3, first 2 shown]
	v_fmac_f64_e32 v[0:1], v[4:5], v[6:7]
	v_mul_f64 v[4:5], v[40:41], v[2:3]
	v_accvgpr_read_b32 v6, a120
	v_mul_f64 v[4:5], v[56:57], v[4:5]
	v_accvgpr_read_b32 v7, a121
	v_mul_f64 v[2:3], v[104:105], v[2:3]
	v_fmac_f64_e32 v[0:1], v[4:5], v[6:7]
	v_mul_f64 v[2:3], v[60:61], v[2:3]
	v_fmac_f64_e32 v[0:1], v[2:3], v[80:81]
	buffer_load_dword v2, off, s[20:23], 0 offset:744 ; 4-byte Folded Reload
	buffer_load_dword v3, off, s[20:23], 0 offset:748 ; 4-byte Folded Reload
	v_accvgpr_read_b32 v8, a122
	v_accvgpr_read_b32 v9, a123
	;; [unrolled: 1-line block ×6, first 2 shown]
	s_waitcnt vmcnt(0)
	v_mul_f64 v[2:3], v[70:71], v[2:3]
	v_mul_f64 v[4:5], v[28:29], v[2:3]
	;; [unrolled: 1-line block ×3, first 2 shown]
	v_fmac_f64_e32 v[0:1], v[4:5], v[6:7]
	v_mul_f64 v[4:5], v[30:31], v[2:3]
	v_accvgpr_read_b32 v6, a46
	v_mul_f64 v[4:5], v[48:49], v[4:5]
	v_accvgpr_read_b32 v7, a47
	v_accvgpr_read_b32 v8, a48
	;; [unrolled: 1-line block ×3, first 2 shown]
	v_fmac_f64_e32 v[0:1], v[4:5], v[6:7]
	v_mul_f64 v[4:5], v[38:39], v[2:3]
	v_accvgpr_read_b32 v6, a98
	v_mul_f64 v[4:5], v[52:53], v[4:5]
	v_accvgpr_read_b32 v7, a99
	v_accvgpr_read_b32 v8, a100
	;; [unrolled: 1-line block ×3, first 2 shown]
	v_fmac_f64_e32 v[0:1], v[4:5], v[6:7]
	v_mul_f64 v[4:5], v[40:41], v[2:3]
	v_accvgpr_read_b32 v6, a54
	v_mul_f64 v[4:5], v[56:57], v[4:5]
	v_accvgpr_read_b32 v7, a55
	v_mul_f64 v[2:3], v[104:105], v[2:3]
	v_fmac_f64_e32 v[0:1], v[4:5], v[6:7]
	v_mul_f64 v[2:3], v[60:61], v[2:3]
	v_fmac_f64_e32 v[0:1], v[2:3], v[86:87]
	buffer_load_dword v2, off, s[20:23], 0 offset:776 ; 4-byte Folded Reload
	buffer_load_dword v3, off, s[20:23], 0 offset:780 ; 4-byte Folded Reload
	v_accvgpr_read_b32 v8, a56
	v_accvgpr_read_b32 v9, a57
	v_accvgpr_read_b32 v6, a68
	v_accvgpr_read_b32 v7, a69
	v_accvgpr_read_b32 v8, a70
	v_accvgpr_read_b32 v9, a71
	s_waitcnt vmcnt(0)
	v_mul_f64 v[2:3], v[74:75], v[2:3]
	v_mul_f64 v[4:5], v[28:29], v[2:3]
	;; [unrolled: 1-line block ×3, first 2 shown]
	v_fmac_f64_e32 v[0:1], v[4:5], v[6:7]
	v_mul_f64 v[4:5], v[30:31], v[2:3]
	v_accvgpr_read_b32 v6, a90
	v_mul_f64 v[4:5], v[48:49], v[4:5]
	v_accvgpr_read_b32 v7, a91
	v_accvgpr_read_b32 v8, a92
	;; [unrolled: 1-line block ×3, first 2 shown]
	v_fmac_f64_e32 v[0:1], v[4:5], v[6:7]
	v_mul_f64 v[4:5], v[38:39], v[2:3]
	v_accvgpr_read_b32 v6, a28
	v_mul_f64 v[4:5], v[52:53], v[4:5]
	v_accvgpr_read_b32 v7, a29
	v_fmac_f64_e32 v[0:1], v[4:5], v[6:7]
	v_mul_f64 v[4:5], v[40:41], v[2:3]
	v_mul_f64 v[4:5], v[56:57], v[4:5]
	;; [unrolled: 1-line block ×3, first 2 shown]
	v_fmac_f64_e32 v[0:1], v[4:5], v[92:93]
	v_mul_f64 v[2:3], v[60:61], v[2:3]
	v_fmac_f64_e32 v[0:1], v[2:3], v[94:95]
	buffer_load_dword v2, off, s[20:23], 0 offset:792 ; 4-byte Folded Reload
	buffer_load_dword v3, off, s[20:23], 0 offset:796 ; 4-byte Folded Reload
	v_accvgpr_read_b32 v8, a30
	v_accvgpr_read_b32 v9, a31
	;; [unrolled: 1-line block ×6, first 2 shown]
	v_add_co_u32_e32 v94, vcc, s5, v128
	v_addc_co_u32_e32 v95, vcc, 0, v129, vcc
	v_add_co_u32_e32 v214, vcc, s9, v128
	v_addc_co_u32_e32 v215, vcc, 0, v129, vcc
	s_waitcnt vmcnt(0)
	v_mul_f64 v[2:3], v[78:79], v[2:3]
	v_mul_f64 v[4:5], v[28:29], v[2:3]
	;; [unrolled: 1-line block ×3, first 2 shown]
	v_fmac_f64_e32 v[0:1], v[4:5], v[6:7]
	v_mul_f64 v[4:5], v[30:31], v[2:3]
	v_mul_f64 v[4:5], v[48:49], v[4:5]
	v_fmac_f64_e32 v[0:1], v[4:5], v[96:97]
	v_mul_f64 v[4:5], v[38:39], v[2:3]
	v_mul_f64 v[4:5], v[52:53], v[4:5]
	;; [unrolled: 3-line block ×3, first 2 shown]
	v_mul_f64 v[2:3], v[104:105], v[2:3]
	v_fmac_f64_e32 v[0:1], v[4:5], v[100:101]
	v_mul_f64 v[2:3], v[60:61], v[2:3]
	v_fmac_f64_e32 v[0:1], v[2:3], v[88:89]
	buffer_load_dword v2, off, s[20:23], 0 offset:808 ; 4-byte Folded Reload
	buffer_load_dword v3, off, s[20:23], 0 offset:812 ; 4-byte Folded Reload
	v_accvgpr_read_b32 v6, a72
	v_accvgpr_read_b32 v7, a73
	;; [unrolled: 1-line block ×4, first 2 shown]
	s_waitcnt vmcnt(0)
	v_mul_f64 v[2:3], v[62:63], v[2:3]
	v_mul_f64 v[4:5], v[28:29], v[2:3]
	;; [unrolled: 1-line block ×3, first 2 shown]
	v_fmac_f64_e32 v[0:1], v[6:7], v[4:5]
	v_mul_f64 v[4:5], v[30:31], v[2:3]
	v_accvgpr_read_b32 v6, a20
	v_mul_f64 v[4:5], v[48:49], v[4:5]
	v_accvgpr_read_b32 v7, a21
	v_fmac_f64_e32 v[0:1], v[6:7], v[4:5]
	v_mul_f64 v[4:5], v[38:39], v[2:3]
	v_accvgpr_read_b32 v8, a22
	v_accvgpr_read_b32 v9, a23
	v_mul_f64 v[4:5], v[52:53], v[4:5]
	v_fmac_f64_e32 v[0:1], v[106:107], v[4:5]
	v_mul_f64 v[4:5], v[40:41], v[2:3]
	v_accvgpr_read_b32 v6, a32
	v_mul_f64 v[4:5], v[56:57], v[4:5]
	v_accvgpr_read_b32 v7, a33
	v_mul_f64 v[2:3], v[104:105], v[2:3]
	v_fmac_f64_e32 v[0:1], v[6:7], v[4:5]
	v_mul_f64 v[2:3], v[60:61], v[2:3]
	v_fmac_f64_e32 v[0:1], v[2:3], v[82:83]
	buffer_load_dword v2, off, s[20:23], 0 offset:824 ; 4-byte Folded Reload
	buffer_load_dword v3, off, s[20:23], 0 offset:828 ; 4-byte Folded Reload
	ds_read_b128 v[16:19], v254 offset:256
	s_waitcnt lgkmcnt(0)
	buffer_store_dword v16, off, s[20:23], 0 offset:904 ; 4-byte Folded Spill
	s_nop 0
	buffer_store_dword v17, off, s[20:23], 0 offset:908 ; 4-byte Folded Spill
	buffer_store_dword v18, off, s[20:23], 0 offset:912 ; 4-byte Folded Spill
	;; [unrolled: 1-line block ×3, first 2 shown]
	v_accvgpr_read_b32 v8, a34
	v_accvgpr_read_b32 v9, a35
	ds_read_b128 v[14:17], v254 offset:272
	ds_read_b128 v[10:13], v254 offset:288
	ds_read_b128 v[6:9], v254 offset:304
	s_waitcnt lgkmcnt(0)
	buffer_store_dword v6, off, s[20:23], 0 offset:1320 ; 4-byte Folded Spill
	s_nop 0
	buffer_store_dword v7, off, s[20:23], 0 offset:1324 ; 4-byte Folded Spill
	buffer_store_dword v8, off, s[20:23], 0 offset:1328 ; 4-byte Folded Spill
	;; [unrolled: 1-line block ×3, first 2 shown]
	v_accvgpr_write_b32 a95, v15
	v_accvgpr_write_b32 a94, v14
	;; [unrolled: 1-line block ×4, first 2 shown]
	s_waitcnt vmcnt(8)
	v_mul_f64 v[2:3], v[66:67], v[2:3]
	v_mul_f64 v[4:5], v[28:29], v[2:3]
	;; [unrolled: 1-line block ×3, first 2 shown]
	v_fmac_f64_e32 v[0:1], v[4:5], v[108:109]
	v_mul_f64 v[4:5], v[30:31], v[2:3]
	v_mul_f64 v[4:5], v[48:49], v[4:5]
	v_fmac_f64_e32 v[0:1], v[4:5], v[110:111]
	v_mul_f64 v[4:5], v[38:39], v[2:3]
	v_mul_f64 v[4:5], v[52:53], v[4:5]
	;; [unrolled: 3-line block ×3, first 2 shown]
	v_fmac_f64_e32 v[0:1], v[4:5], v[18:19]
	ds_read2_b64 v[18:21], v254 offset0:33 offset1:34
	s_waitcnt lgkmcnt(0)
	buffer_store_dword v18, off, s[20:23], 0 offset:920 ; 4-byte Folded Spill
	s_nop 0
	buffer_store_dword v19, off, s[20:23], 0 offset:924 ; 4-byte Folded Spill
	buffer_store_dword v20, off, s[20:23], 0 offset:928 ; 4-byte Folded Spill
	;; [unrolled: 1-line block ×3, first 2 shown]
	v_mul_f64 v[2:3], v[104:105], v[2:3]
	v_mul_f64 v[2:3], v[60:61], v[2:3]
	v_fmac_f64_e32 v[0:1], v[2:3], v[20:21]
	buffer_load_dword v2, off, s[20:23], 0 offset:760 ; 4-byte Folded Reload
	buffer_load_dword v3, off, s[20:23], 0 offset:764 ; 4-byte Folded Reload
	s_waitcnt vmcnt(0)
	v_mul_f64 v[2:3], v[70:71], v[2:3]
	v_mul_f64 v[4:5], v[28:29], v[2:3]
	;; [unrolled: 1-line block ×3, first 2 shown]
	v_fmac_f64_e32 v[0:1], v[4:5], v[16:17]
	ds_read2_b64 v[14:17], v254 offset0:35 offset1:36
	v_mul_f64 v[4:5], v[30:31], v[2:3]
	v_mul_f64 v[4:5], v[48:49], v[4:5]
	s_waitcnt lgkmcnt(0)
	v_fmac_f64_e32 v[0:1], v[4:5], v[16:17]
	v_mul_f64 v[4:5], v[38:39], v[2:3]
	v_mul_f64 v[4:5], v[52:53], v[4:5]
	v_fmac_f64_e32 v[0:1], v[4:5], v[12:13]
	ds_read2_b64 v[10:13], v254 offset0:37 offset1:38
	s_waitcnt lgkmcnt(0)
	buffer_store_dword v10, off, s[20:23], 0 offset:936 ; 4-byte Folded Spill
	s_nop 0
	buffer_store_dword v11, off, s[20:23], 0 offset:940 ; 4-byte Folded Spill
	buffer_store_dword v12, off, s[20:23], 0 offset:944 ; 4-byte Folded Spill
	;; [unrolled: 1-line block ×3, first 2 shown]
	v_mul_f64 v[4:5], v[40:41], v[2:3]
	v_mul_f64 v[4:5], v[56:57], v[4:5]
	;; [unrolled: 1-line block ×4, first 2 shown]
	v_accvgpr_write_b32 a91, v15
	v_accvgpr_write_b32 a90, v14
	v_fmac_f64_e32 v[0:1], v[4:5], v[12:13]
	v_fmac_f64_e32 v[0:1], v[2:3], v[8:9]
	buffer_load_dword v2, off, s[20:23], 0 offset:712 ; 4-byte Folded Reload
	buffer_load_dword v3, off, s[20:23], 0 offset:716 ; 4-byte Folded Reload
	ds_read2_b64 v[6:9], v254 offset0:39 offset1:40
	s_waitcnt lgkmcnt(0)
	buffer_store_dword v6, off, s[20:23], 0 offset:968 ; 4-byte Folded Spill
	s_nop 0
	buffer_store_dword v7, off, s[20:23], 0 offset:972 ; 4-byte Folded Spill
	buffer_store_dword v8, off, s[20:23], 0 offset:976 ; 4-byte Folded Spill
	;; [unrolled: 1-line block ×3, first 2 shown]
	s_waitcnt vmcnt(4)
	v_mul_f64 v[2:3], v[74:75], v[2:3]
	v_mul_f64 v[4:5], v[28:29], v[2:3]
	;; [unrolled: 1-line block ×3, first 2 shown]
	v_fmac_f64_e32 v[0:1], v[4:5], v[8:9]
	ds_read_b128 v[6:9], v254 offset:320
	s_waitcnt lgkmcnt(0)
	buffer_store_dword v6, off, s[20:23], 0 offset:952 ; 4-byte Folded Spill
	s_nop 0
	buffer_store_dword v7, off, s[20:23], 0 offset:956 ; 4-byte Folded Spill
	buffer_store_dword v8, off, s[20:23], 0 offset:960 ; 4-byte Folded Spill
	;; [unrolled: 1-line block ×3, first 2 shown]
	v_mul_f64 v[4:5], v[30:31], v[2:3]
	v_mul_f64 v[4:5], v[48:49], v[4:5]
	v_fmac_f64_e32 v[0:1], v[4:5], v[8:9]
	ds_read2_b64 v[6:9], v254 offset0:41 offset1:42
	v_mul_f64 v[4:5], v[38:39], v[2:3]
	v_mul_f64 v[4:5], v[52:53], v[4:5]
	s_waitcnt lgkmcnt(0)
	v_accvgpr_write_b32 a47, v7
	v_fmac_f64_e32 v[0:1], v[4:5], v[8:9]
	v_accvgpr_write_b32 a46, v6
	ds_read_b128 v[6:9], v254 offset:336
	s_waitcnt lgkmcnt(0)
	buffer_store_dword v6, off, s[20:23], 0 offset:984 ; 4-byte Folded Spill
	s_nop 0
	buffer_store_dword v7, off, s[20:23], 0 offset:988 ; 4-byte Folded Spill
	buffer_store_dword v8, off, s[20:23], 0 offset:992 ; 4-byte Folded Spill
	;; [unrolled: 1-line block ×3, first 2 shown]
	v_mul_f64 v[4:5], v[40:41], v[2:3]
	v_mul_f64 v[4:5], v[56:57], v[4:5]
	;; [unrolled: 1-line block ×4, first 2 shown]
	v_fmac_f64_e32 v[0:1], v[4:5], v[8:9]
	ds_read2_b64 v[4:7], v254 offset0:43 offset1:44
	s_waitcnt lgkmcnt(0)
	v_fmac_f64_e32 v[0:1], v[2:3], v[6:7]
	buffer_load_dword v2, off, s[20:23], 0 offset:680 ; 4-byte Folded Reload
	buffer_load_dword v3, off, s[20:23], 0 offset:684 ; 4-byte Folded Reload
	ds_read_b128 v[6:9], v254 offset:352
	v_accvgpr_write_b32 a99, v5
	v_accvgpr_write_b32 a98, v4
	s_waitcnt lgkmcnt(0)
	v_accvgpr_write_b32 a103, v7
	v_accvgpr_write_b32 a102, v6
	s_waitcnt vmcnt(0)
	v_mul_f64 v[2:3], v[78:79], v[2:3]
	v_mul_f64 v[4:5], v[28:29], v[2:3]
	;; [unrolled: 1-line block ×3, first 2 shown]
	v_fmac_f64_e32 v[0:1], v[4:5], v[8:9]
	ds_read2_b64 v[6:9], v254 offset0:45 offset1:46
	s_waitcnt lgkmcnt(0)
	buffer_store_dword v6, off, s[20:23], 0 offset:1000 ; 4-byte Folded Spill
	s_nop 0
	buffer_store_dword v7, off, s[20:23], 0 offset:1004 ; 4-byte Folded Spill
	buffer_store_dword v8, off, s[20:23], 0 offset:1008 ; 4-byte Folded Spill
	;; [unrolled: 1-line block ×3, first 2 shown]
	v_mul_f64 v[4:5], v[30:31], v[2:3]
	v_mul_f64 v[4:5], v[48:49], v[4:5]
	v_fmac_f64_e32 v[0:1], v[4:5], v[8:9]
	ds_read_b128 v[6:9], v254 offset:368
	s_waitcnt lgkmcnt(0)
	buffer_store_dword v6, off, s[20:23], 0 offset:1032 ; 4-byte Folded Spill
	s_nop 0
	buffer_store_dword v7, off, s[20:23], 0 offset:1036 ; 4-byte Folded Spill
	buffer_store_dword v8, off, s[20:23], 0 offset:1040 ; 4-byte Folded Spill
	;; [unrolled: 1-line block ×3, first 2 shown]
	v_mul_f64 v[4:5], v[38:39], v[2:3]
	v_mul_f64 v[4:5], v[52:53], v[4:5]
	v_fmac_f64_e32 v[0:1], v[4:5], v[8:9]
	ds_read2_b64 v[6:9], v254 offset0:47 offset1:48
	s_waitcnt lgkmcnt(0)
	buffer_store_dword v6, off, s[20:23], 0 offset:1048 ; 4-byte Folded Spill
	s_nop 0
	buffer_store_dword v7, off, s[20:23], 0 offset:1052 ; 4-byte Folded Spill
	buffer_store_dword v8, off, s[20:23], 0 offset:1056 ; 4-byte Folded Spill
	;; [unrolled: 1-line block ×3, first 2 shown]
	v_mul_f64 v[4:5], v[40:41], v[2:3]
	v_mul_f64 v[4:5], v[56:57], v[4:5]
	;; [unrolled: 1-line block ×4, first 2 shown]
	v_fmac_f64_e32 v[0:1], v[4:5], v[8:9]
	ds_read_b128 v[4:7], v254 offset:384
	s_waitcnt lgkmcnt(0)
	buffer_store_dword v4, off, s[20:23], 0 offset:1064 ; 4-byte Folded Spill
	s_nop 0
	buffer_store_dword v5, off, s[20:23], 0 offset:1068 ; 4-byte Folded Spill
	buffer_store_dword v6, off, s[20:23], 0 offset:1072 ; 4-byte Folded Spill
	;; [unrolled: 1-line block ×3, first 2 shown]
	buffer_load_dword v126, off, s[20:23], 0 offset:2044 ; 4-byte Folded Reload
	s_waitcnt vmcnt(0)
	ds_read2_b64 v[12:15], v126 offset0:4 offset1:8
	ds_read2_b64 v[8:11], v126 offset0:8 offset1:12
	v_fmac_f64_e32 v[0:1], v[2:3], v[6:7]
	buffer_load_dword v2, off, s[20:23], 0 offset:64 ; 4-byte Folded Reload
	buffer_load_dword v3, off, s[20:23], 0 offset:68 ; 4-byte Folded Reload
	buffer_load_dword v4, off, s[20:23], 0 offset:72 ; 4-byte Folded Reload
	buffer_load_dword v5, off, s[20:23], 0 offset:76 ; 4-byte Folded Reload
	buffer_load_dword v16, off, s[20:23], 0 offset:528 ; 4-byte Folded Reload
	buffer_load_dword v17, off, s[20:23], 0 offset:532 ; 4-byte Folded Reload
	buffer_load_dword v18, off, s[20:23], 0 offset:536 ; 4-byte Folded Reload
	buffer_load_dword v19, off, s[20:23], 0 offset:540 ; 4-byte Folded Reload
	s_waitcnt lgkmcnt(1)
	v_accvgpr_write_b32 a111, v13
	v_accvgpr_write_b32 a110, v12
	s_waitcnt lgkmcnt(0)
	v_accvgpr_write_b32 a83, v9
	v_accvgpr_write_b32 a82, v8
	s_waitcnt vmcnt(4)
	v_mul_f64 v[2:3], v[14:15], v[4:5]
	ds_read2_b64 v[12:15], v254 offset0:49 offset1:50
	s_waitcnt vmcnt(2)
	v_mul_f64 v[4:5], v[16:17], v[2:3]
	v_mul_f64 v[4:5], v[62:63], v[4:5]
	v_mul_f64 v[6:7], v[28:29], v[4:5]
	v_mul_f64 v[6:7], v[44:45], v[6:7]
	s_waitcnt lgkmcnt(0)
	v_accvgpr_write_b32 a107, v13
	v_fmac_f64_e32 v[0:1], v[14:15], v[6:7]
	v_accvgpr_write_b32 a106, v12
	ds_read_b128 v[12:15], v254 offset:400
	s_waitcnt lgkmcnt(0)
	buffer_store_dword v12, off, s[20:23], 0 offset:680 ; 4-byte Folded Spill
	s_nop 0
	buffer_store_dword v13, off, s[20:23], 0 offset:684 ; 4-byte Folded Spill
	buffer_store_dword v14, off, s[20:23], 0 offset:688 ; 4-byte Folded Spill
	;; [unrolled: 1-line block ×3, first 2 shown]
	v_mul_f64 v[6:7], v[30:31], v[4:5]
	v_mul_f64 v[6:7], v[48:49], v[6:7]
	s_waitcnt vmcnt(4)
	v_pk_mov_b32 v[24:25], v[18:19], v[18:19] op_sel:[0,1]
	v_pk_mov_b32 v[22:23], v[16:17], v[16:17] op_sel:[0,1]
	v_fmac_f64_e32 v[0:1], v[14:15], v[6:7]
	ds_read2_b64 v[12:15], v254 offset0:51 offset1:52
	s_waitcnt lgkmcnt(0)
	buffer_store_dword v12, off, s[20:23], 0 offset:1544 ; 4-byte Folded Spill
	s_nop 0
	buffer_store_dword v13, off, s[20:23], 0 offset:1548 ; 4-byte Folded Spill
	buffer_store_dword v14, off, s[20:23], 0 offset:1552 ; 4-byte Folded Spill
	;; [unrolled: 1-line block ×3, first 2 shown]
	v_mul_f64 v[6:7], v[38:39], v[4:5]
	v_mul_f64 v[6:7], v[52:53], v[6:7]
	v_fmac_f64_e32 v[0:1], v[14:15], v[6:7]
	ds_read_b128 v[12:15], v254 offset:416
	s_waitcnt lgkmcnt(0)
	buffer_store_dword v12, off, s[20:23], 0 offset:696 ; 4-byte Folded Spill
	s_nop 0
	buffer_store_dword v13, off, s[20:23], 0 offset:700 ; 4-byte Folded Spill
	buffer_store_dword v14, off, s[20:23], 0 offset:704 ; 4-byte Folded Spill
	;; [unrolled: 1-line block ×3, first 2 shown]
	v_mul_f64 v[6:7], v[40:41], v[4:5]
	v_mul_f64 v[6:7], v[56:57], v[6:7]
	;; [unrolled: 1-line block ×4, first 2 shown]
	v_fmac_f64_e32 v[0:1], v[14:15], v[6:7]
	ds_read2_b64 v[12:15], v254 offset0:53 offset1:54
	s_waitcnt lgkmcnt(0)
	buffer_store_dword v12, off, s[20:23], 0 offset:1480 ; 4-byte Folded Spill
	s_nop 0
	buffer_store_dword v13, off, s[20:23], 0 offset:1484 ; 4-byte Folded Spill
	buffer_store_dword v14, off, s[20:23], 0 offset:1488 ; 4-byte Folded Spill
	;; [unrolled: 1-line block ×3, first 2 shown]
	v_fmac_f64_e32 v[0:1], v[4:5], v[14:15]
	ds_read_b128 v[12:15], v254 offset:432
	s_waitcnt lgkmcnt(0)
	buffer_store_dword v12, off, s[20:23], 0 offset:1160 ; 4-byte Folded Spill
	s_nop 0
	buffer_store_dword v13, off, s[20:23], 0 offset:1164 ; 4-byte Folded Spill
	buffer_store_dword v14, off, s[20:23], 0 offset:1168 ; 4-byte Folded Spill
	;; [unrolled: 1-line block ×3, first 2 shown]
	v_mul_f64 v[4:5], v[18:19], v[2:3]
	v_mul_f64 v[4:5], v[66:67], v[4:5]
	;; [unrolled: 1-line block ×4, first 2 shown]
	v_fmac_f64_e32 v[0:1], v[6:7], v[14:15]
	ds_read2_b64 v[12:15], v254 offset0:55 offset1:56
	s_waitcnt lgkmcnt(0)
	buffer_store_dword v12, off, s[20:23], 0 offset:712 ; 4-byte Folded Spill
	s_nop 0
	buffer_store_dword v13, off, s[20:23], 0 offset:716 ; 4-byte Folded Spill
	buffer_store_dword v14, off, s[20:23], 0 offset:720 ; 4-byte Folded Spill
	buffer_store_dword v15, off, s[20:23], 0 offset:724 ; 4-byte Folded Spill
	v_mul_f64 v[6:7], v[30:31], v[4:5]
	v_mul_f64 v[6:7], v[48:49], v[6:7]
	v_fmac_f64_e32 v[0:1], v[6:7], v[14:15]
	ds_read_b128 v[12:15], v254 offset:448
	s_waitcnt lgkmcnt(0)
	buffer_store_dword v12, off, s[20:23], 0 offset:728 ; 4-byte Folded Spill
	s_nop 0
	buffer_store_dword v13, off, s[20:23], 0 offset:732 ; 4-byte Folded Spill
	buffer_store_dword v14, off, s[20:23], 0 offset:736 ; 4-byte Folded Spill
	;; [unrolled: 1-line block ×3, first 2 shown]
	v_mul_f64 v[6:7], v[38:39], v[4:5]
	v_mul_f64 v[6:7], v[52:53], v[6:7]
	v_fmac_f64_e32 v[0:1], v[6:7], v[14:15]
	ds_read2_b64 v[12:15], v254 offset0:57 offset1:58
	s_waitcnt lgkmcnt(0)
	buffer_store_dword v12, off, s[20:23], 0 offset:824 ; 4-byte Folded Spill
	s_nop 0
	buffer_store_dword v13, off, s[20:23], 0 offset:828 ; 4-byte Folded Spill
	buffer_store_dword v14, off, s[20:23], 0 offset:832 ; 4-byte Folded Spill
	;; [unrolled: 1-line block ×3, first 2 shown]
	v_mul_f64 v[6:7], v[40:41], v[4:5]
	v_mul_f64 v[6:7], v[56:57], v[6:7]
	;; [unrolled: 1-line block ×4, first 2 shown]
	v_fmac_f64_e32 v[0:1], v[6:7], v[14:15]
	ds_read_b128 v[12:15], v254 offset:464
	s_waitcnt lgkmcnt(0)
	buffer_store_dword v12, off, s[20:23], 0 offset:744 ; 4-byte Folded Spill
	s_nop 0
	buffer_store_dword v13, off, s[20:23], 0 offset:748 ; 4-byte Folded Spill
	buffer_store_dword v14, off, s[20:23], 0 offset:752 ; 4-byte Folded Spill
	;; [unrolled: 1-line block ×3, first 2 shown]
	buffer_load_dword v16, off, s[20:23], 0 offset:544 ; 4-byte Folded Reload
	buffer_load_dword v17, off, s[20:23], 0 offset:548 ; 4-byte Folded Reload
	;; [unrolled: 1-line block ×4, first 2 shown]
	v_fmac_f64_e32 v[0:1], v[4:5], v[14:15]
	ds_read2_b64 v[12:15], v254 offset0:59 offset1:60
	s_waitcnt lgkmcnt(0)
	buffer_store_dword v12, off, s[20:23], 0 offset:760 ; 4-byte Folded Spill
	s_nop 0
	buffer_store_dword v13, off, s[20:23], 0 offset:764 ; 4-byte Folded Spill
	buffer_store_dword v14, off, s[20:23], 0 offset:768 ; 4-byte Folded Spill
	;; [unrolled: 1-line block ×3, first 2 shown]
	s_waitcnt vmcnt(6)
	v_mul_f64 v[4:5], v[16:17], v[2:3]
	v_mul_f64 v[4:5], v[70:71], v[4:5]
	v_mul_f64 v[6:7], v[28:29], v[4:5]
	v_mul_f64 v[6:7], v[44:45], v[6:7]
	v_fmac_f64_e32 v[0:1], v[6:7], v[14:15]
	ds_read_b128 v[12:15], v254 offset:480
	s_waitcnt lgkmcnt(0)
	buffer_store_dword v12, off, s[20:23], 0 offset:1720 ; 4-byte Folded Spill
	s_nop 0
	buffer_store_dword v13, off, s[20:23], 0 offset:1724 ; 4-byte Folded Spill
	buffer_store_dword v14, off, s[20:23], 0 offset:1728 ; 4-byte Folded Spill
	;; [unrolled: 1-line block ×3, first 2 shown]
	v_mul_f64 v[6:7], v[30:31], v[4:5]
	v_mul_f64 v[6:7], v[48:49], v[6:7]
	v_fmac_f64_e32 v[0:1], v[6:7], v[14:15]
	ds_read2_b64 v[12:15], v254 offset0:61 offset1:62
	v_mul_f64 v[6:7], v[38:39], v[4:5]
	v_mul_f64 v[6:7], v[52:53], v[6:7]
	s_waitcnt lgkmcnt(0)
	v_accvgpr_write_b32 a59, v13
	v_fmac_f64_e32 v[0:1], v[6:7], v[14:15]
	v_accvgpr_write_b32 a58, v12
	ds_read_b128 v[12:15], v254 offset:496
	s_waitcnt lgkmcnt(0)
	buffer_store_dword v12, off, s[20:23], 0 offset:792 ; 4-byte Folded Spill
	s_nop 0
	buffer_store_dword v13, off, s[20:23], 0 offset:796 ; 4-byte Folded Spill
	buffer_store_dword v14, off, s[20:23], 0 offset:800 ; 4-byte Folded Spill
	;; [unrolled: 1-line block ×3, first 2 shown]
	v_mul_f64 v[6:7], v[40:41], v[4:5]
	v_mul_f64 v[6:7], v[56:57], v[6:7]
	;; [unrolled: 1-line block ×4, first 2 shown]
	v_fmac_f64_e32 v[0:1], v[6:7], v[14:15]
	ds_read2_b64 v[12:15], v254 offset0:63 offset1:64
	s_waitcnt lgkmcnt(0)
	v_accvgpr_write_b32 a63, v13
	v_fmac_f64_e32 v[0:1], v[4:5], v[14:15]
	v_accvgpr_write_b32 a62, v12
	ds_read_b128 v[12:15], v254 offset:512
	s_waitcnt vmcnt(12)
	v_mul_f64 v[4:5], v[18:19], v[2:3]
	v_mul_f64 v[4:5], v[74:75], v[4:5]
	v_mul_f64 v[6:7], v[28:29], v[4:5]
	v_mul_f64 v[6:7], v[44:45], v[6:7]
	s_waitcnt lgkmcnt(0)
	v_accvgpr_write_b32 a55, v13
	v_fmac_f64_e32 v[0:1], v[6:7], v[14:15]
	v_accvgpr_write_b32 a54, v12
	ds_read2_b64 v[12:15], v254 offset0:65 offset1:66
	s_waitcnt lgkmcnt(0)
	buffer_store_dword v12, off, s[20:23], 0 offset:808 ; 4-byte Folded Spill
	s_nop 0
	buffer_store_dword v13, off, s[20:23], 0 offset:812 ; 4-byte Folded Spill
	buffer_store_dword v14, off, s[20:23], 0 offset:816 ; 4-byte Folded Spill
	;; [unrolled: 1-line block ×3, first 2 shown]
	v_mul_f64 v[6:7], v[30:31], v[4:5]
	v_mul_f64 v[6:7], v[48:49], v[6:7]
	v_pk_mov_b32 v[20:21], v[18:19], v[18:19] op_sel:[0,1]
	v_pk_mov_b32 v[18:19], v[16:17], v[16:17] op_sel:[0,1]
	v_fmac_f64_e32 v[0:1], v[6:7], v[14:15]
	ds_read_b128 v[12:15], v254 offset:528
	s_waitcnt lgkmcnt(0)
	buffer_store_dword v12, off, s[20:23], 0 offset:840 ; 4-byte Folded Spill
	s_nop 0
	buffer_store_dword v13, off, s[20:23], 0 offset:844 ; 4-byte Folded Spill
	buffer_store_dword v14, off, s[20:23], 0 offset:848 ; 4-byte Folded Spill
	;; [unrolled: 1-line block ×3, first 2 shown]
	v_mul_f64 v[6:7], v[38:39], v[4:5]
	v_mul_f64 v[6:7], v[52:53], v[6:7]
	v_fmac_f64_e32 v[0:1], v[6:7], v[14:15]
	ds_read2_b64 v[12:15], v254 offset0:67 offset1:68
	s_waitcnt lgkmcnt(0)
	buffer_store_dword v12, off, s[20:23], 0 offset:856 ; 4-byte Folded Spill
	s_nop 0
	buffer_store_dword v13, off, s[20:23], 0 offset:860 ; 4-byte Folded Spill
	buffer_store_dword v14, off, s[20:23], 0 offset:864 ; 4-byte Folded Spill
	;; [unrolled: 1-line block ×3, first 2 shown]
	v_mul_f64 v[6:7], v[40:41], v[4:5]
	v_mul_f64 v[6:7], v[56:57], v[6:7]
	;; [unrolled: 1-line block ×4, first 2 shown]
	v_fmac_f64_e32 v[0:1], v[6:7], v[14:15]
	ds_read_b128 v[12:15], v254 offset:544
	s_waitcnt lgkmcnt(0)
	buffer_store_dword v12, off, s[20:23], 0 offset:872 ; 4-byte Folded Spill
	s_nop 0
	buffer_store_dword v13, off, s[20:23], 0 offset:876 ; 4-byte Folded Spill
	buffer_store_dword v14, off, s[20:23], 0 offset:880 ; 4-byte Folded Spill
	buffer_store_dword v15, off, s[20:23], 0 offset:884 ; 4-byte Folded Spill
	buffer_load_dword v16, off, s[20:23], 0 offset:560 ; 4-byte Folded Reload
	buffer_load_dword v17, off, s[20:23], 0 offset:564 ; 4-byte Folded Reload
	v_fmac_f64_e32 v[0:1], v[4:5], v[14:15]
	ds_read2_b64 v[12:15], v254 offset0:69 offset1:70
	s_waitcnt lgkmcnt(0)
	buffer_store_dword v12, off, s[20:23], 0 offset:888 ; 4-byte Folded Spill
	s_nop 0
	buffer_store_dword v13, off, s[20:23], 0 offset:892 ; 4-byte Folded Spill
	buffer_store_dword v14, off, s[20:23], 0 offset:896 ; 4-byte Folded Spill
	;; [unrolled: 1-line block ×3, first 2 shown]
	s_waitcnt vmcnt(4)
	v_mul_f64 v[2:3], v[16:17], v[2:3]
	v_mul_f64 v[2:3], v[78:79], v[2:3]
	;; [unrolled: 1-line block ×4, first 2 shown]
	v_fmac_f64_e32 v[0:1], v[4:5], v[14:15]
	ds_read_b128 v[12:15], v254 offset:560
	v_mul_f64 v[4:5], v[30:31], v[2:3]
	v_mul_f64 v[4:5], v[48:49], v[4:5]
	s_waitcnt lgkmcnt(0)
	v_accvgpr_write_b32 a71, v13
	v_fmac_f64_e32 v[0:1], v[4:5], v[14:15]
	v_accvgpr_write_b32 a70, v12
	ds_read2_b64 v[12:15], v254 offset0:71 offset1:72
	v_mul_f64 v[4:5], v[38:39], v[2:3]
	v_mul_f64 v[4:5], v[52:53], v[4:5]
	s_waitcnt lgkmcnt(0)
	v_accvgpr_write_b32 a75, v13
	v_fmac_f64_e32 v[0:1], v[4:5], v[14:15]
	v_accvgpr_write_b32 a74, v12
	ds_read_b128 v[12:15], v254 offset:576
	s_waitcnt lgkmcnt(0)
	buffer_store_dword v12, off, s[20:23], 0 offset:1592 ; 4-byte Folded Spill
	s_nop 0
	buffer_store_dword v13, off, s[20:23], 0 offset:1596 ; 4-byte Folded Spill
	buffer_store_dword v14, off, s[20:23], 0 offset:1600 ; 4-byte Folded Spill
	;; [unrolled: 1-line block ×3, first 2 shown]
	v_mul_f64 v[4:5], v[40:41], v[2:3]
	v_mul_f64 v[4:5], v[56:57], v[4:5]
	;; [unrolled: 1-line block ×4, first 2 shown]
	v_fmac_f64_e32 v[0:1], v[4:5], v[14:15]
	ds_read2_b64 v[4:7], v254 offset0:73 offset1:74
	buffer_load_dword a174, off, s[20:23], 0 offset:1752 ; 4-byte Folded Reload
	buffer_load_dword a175, off, s[20:23], 0 offset:1756 ; 4-byte Folded Reload
	;; [unrolled: 1-line block ×4, first 2 shown]
	s_waitcnt lgkmcnt(0)
	v_accvgpr_write_b32 a79, v5
	v_fmac_f64_e32 v[0:1], v[2:3], v[6:7]
	v_accvgpr_write_b32 a78, v4
	s_waitcnt vmcnt(0)
	v_accvgpr_read_b32 v2, a174
	v_accvgpr_read_b32 v3, a175
	;; [unrolled: 1-line block ×4, first 2 shown]
	v_mul_f64 v[2:3], v[10:11], v[4:5]
	ds_read_b128 v[8:11], v254 offset:592
	s_waitcnt lgkmcnt(0)
	buffer_store_dword v8, off, s[20:23], 0 offset:1176 ; 4-byte Folded Spill
	s_nop 0
	buffer_store_dword v9, off, s[20:23], 0 offset:1180 ; 4-byte Folded Spill
	buffer_store_dword v10, off, s[20:23], 0 offset:1184 ; 4-byte Folded Spill
	buffer_store_dword v11, off, s[20:23], 0 offset:1188 ; 4-byte Folded Spill
	v_mul_f64 v[4:5], v[22:23], v[2:3]
	v_mul_f64 v[4:5], v[62:63], v[4:5]
	;; [unrolled: 1-line block ×4, first 2 shown]
	v_fmac_f64_e32 v[0:1], v[10:11], v[6:7]
	ds_read2_b64 v[8:11], v254 offset0:75 offset1:76
	s_waitcnt lgkmcnt(0)
	buffer_store_dword v8, off, s[20:23], 0 offset:512 ; 4-byte Folded Spill
	s_nop 0
	buffer_store_dword v9, off, s[20:23], 0 offset:516 ; 4-byte Folded Spill
	buffer_store_dword v10, off, s[20:23], 0 offset:520 ; 4-byte Folded Spill
	;; [unrolled: 1-line block ×3, first 2 shown]
	v_mul_f64 v[6:7], v[30:31], v[4:5]
	v_mul_f64 v[6:7], v[48:49], v[6:7]
	v_fmac_f64_e32 v[0:1], v[10:11], v[6:7]
	ds_read_b128 v[8:11], v254 offset:608
	s_waitcnt lgkmcnt(0)
	buffer_store_dword v8, off, s[20:23], 0 offset:776 ; 4-byte Folded Spill
	s_nop 0
	buffer_store_dword v9, off, s[20:23], 0 offset:780 ; 4-byte Folded Spill
	buffer_store_dword v10, off, s[20:23], 0 offset:784 ; 4-byte Folded Spill
	;; [unrolled: 1-line block ×3, first 2 shown]
	v_mul_f64 v[6:7], v[38:39], v[4:5]
	v_mul_f64 v[6:7], v[52:53], v[6:7]
	v_fmac_f64_e32 v[0:1], v[10:11], v[6:7]
	ds_read2_b64 v[8:11], v254 offset0:77 offset1:78
	s_waitcnt lgkmcnt(0)
	buffer_store_dword v8, off, s[20:23], 0 offset:496 ; 4-byte Folded Spill
	s_nop 0
	buffer_store_dword v9, off, s[20:23], 0 offset:500 ; 4-byte Folded Spill
	buffer_store_dword v10, off, s[20:23], 0 offset:504 ; 4-byte Folded Spill
	;; [unrolled: 1-line block ×3, first 2 shown]
	v_mul_f64 v[6:7], v[40:41], v[4:5]
	v_mul_f64 v[6:7], v[56:57], v[6:7]
	;; [unrolled: 1-line block ×4, first 2 shown]
	v_fmac_f64_e32 v[0:1], v[10:11], v[6:7]
	ds_read_b128 v[6:9], v254 offset:624
	s_waitcnt lgkmcnt(0)
	buffer_store_dword v6, off, s[20:23], 0 offset:1016 ; 4-byte Folded Spill
	s_nop 0
	buffer_store_dword v7, off, s[20:23], 0 offset:1020 ; 4-byte Folded Spill
	buffer_store_dword v8, off, s[20:23], 0 offset:1024 ; 4-byte Folded Spill
	;; [unrolled: 1-line block ×3, first 2 shown]
	v_fmac_f64_e32 v[0:1], v[4:5], v[8:9]
	ds_read2_b64 v[8:11], v254 offset0:79 offset1:80
	s_waitcnt lgkmcnt(0)
	buffer_store_dword v8, off, s[20:23], 0 offset:480 ; 4-byte Folded Spill
	s_nop 0
	buffer_store_dword v9, off, s[20:23], 0 offset:484 ; 4-byte Folded Spill
	buffer_store_dword v10, off, s[20:23], 0 offset:488 ; 4-byte Folded Spill
	;; [unrolled: 1-line block ×3, first 2 shown]
	v_mul_f64 v[4:5], v[24:25], v[2:3]
	v_mul_f64 v[4:5], v[66:67], v[4:5]
	;; [unrolled: 1-line block ×4, first 2 shown]
	v_fmac_f64_e32 v[0:1], v[6:7], v[10:11]
	ds_read_b128 v[8:11], v254 offset:640
	s_waitcnt lgkmcnt(0)
	buffer_store_dword v8, off, s[20:23], 0 offset:1080 ; 4-byte Folded Spill
	s_nop 0
	buffer_store_dword v9, off, s[20:23], 0 offset:1084 ; 4-byte Folded Spill
	buffer_store_dword v10, off, s[20:23], 0 offset:1088 ; 4-byte Folded Spill
	;; [unrolled: 1-line block ×3, first 2 shown]
	v_mul_f64 v[6:7], v[30:31], v[4:5]
	v_mul_f64 v[6:7], v[48:49], v[6:7]
	v_fmac_f64_e32 v[0:1], v[6:7], v[10:11]
	ds_read2_b64 v[8:11], v254 offset0:81 offset1:82
	s_waitcnt lgkmcnt(0)
	buffer_store_dword v8, off, s[20:23], 0 offset:464 ; 4-byte Folded Spill
	s_nop 0
	buffer_store_dword v9, off, s[20:23], 0 offset:468 ; 4-byte Folded Spill
	buffer_store_dword v10, off, s[20:23], 0 offset:472 ; 4-byte Folded Spill
	;; [unrolled: 1-line block ×3, first 2 shown]
	v_mul_f64 v[6:7], v[38:39], v[4:5]
	v_mul_f64 v[6:7], v[52:53], v[6:7]
	v_fmac_f64_e32 v[0:1], v[6:7], v[10:11]
	ds_read_b128 v[8:11], v254 offset:656
	s_waitcnt lgkmcnt(0)
	buffer_store_dword v8, off, s[20:23], 0 offset:1112 ; 4-byte Folded Spill
	s_nop 0
	buffer_store_dword v9, off, s[20:23], 0 offset:1116 ; 4-byte Folded Spill
	buffer_store_dword v10, off, s[20:23], 0 offset:1120 ; 4-byte Folded Spill
	;; [unrolled: 1-line block ×3, first 2 shown]
	v_mul_f64 v[6:7], v[40:41], v[4:5]
	v_mul_f64 v[6:7], v[56:57], v[6:7]
	;; [unrolled: 1-line block ×4, first 2 shown]
	v_fmac_f64_e32 v[0:1], v[6:7], v[10:11]
	ds_read2_b64 v[6:9], v254 offset0:83 offset1:84
	s_waitcnt lgkmcnt(0)
	buffer_store_dword v6, off, s[20:23], 0 offset:448 ; 4-byte Folded Spill
	s_nop 0
	buffer_store_dword v7, off, s[20:23], 0 offset:452 ; 4-byte Folded Spill
	buffer_store_dword v8, off, s[20:23], 0 offset:456 ; 4-byte Folded Spill
	;; [unrolled: 1-line block ×3, first 2 shown]
	v_fmac_f64_e32 v[0:1], v[4:5], v[8:9]
	ds_read_b128 v[8:11], v254 offset:672
	s_waitcnt lgkmcnt(0)
	buffer_store_dword v8, off, s[20:23], 0 offset:1416 ; 4-byte Folded Spill
	s_nop 0
	buffer_store_dword v9, off, s[20:23], 0 offset:1420 ; 4-byte Folded Spill
	buffer_store_dword v10, off, s[20:23], 0 offset:1424 ; 4-byte Folded Spill
	;; [unrolled: 1-line block ×3, first 2 shown]
	v_mul_f64 v[4:5], v[18:19], v[2:3]
	v_mul_f64 v[4:5], v[70:71], v[4:5]
	;; [unrolled: 1-line block ×4, first 2 shown]
	v_fmac_f64_e32 v[0:1], v[6:7], v[10:11]
	ds_read2_b64 v[8:11], v254 offset0:85 offset1:86
	s_waitcnt lgkmcnt(0)
	buffer_store_dword v8, off, s[20:23], 0 offset:432 ; 4-byte Folded Spill
	s_nop 0
	buffer_store_dword v9, off, s[20:23], 0 offset:436 ; 4-byte Folded Spill
	buffer_store_dword v10, off, s[20:23], 0 offset:440 ; 4-byte Folded Spill
	;; [unrolled: 1-line block ×3, first 2 shown]
	v_mul_f64 v[6:7], v[30:31], v[4:5]
	v_mul_f64 v[6:7], v[48:49], v[6:7]
	v_fmac_f64_e32 v[0:1], v[6:7], v[10:11]
	ds_read_b128 v[8:11], v254 offset:688
	v_mul_f64 v[6:7], v[38:39], v[4:5]
	v_mul_f64 v[6:7], v[52:53], v[6:7]
	s_waitcnt lgkmcnt(0)
	v_accvgpr_write_b32 a237, v9
	v_fmac_f64_e32 v[0:1], v[6:7], v[10:11]
	v_accvgpr_write_b32 a236, v8
	ds_read2_b64 v[8:11], v254 offset0:87 offset1:88
	s_waitcnt lgkmcnt(0)
	buffer_store_dword v8, off, s[20:23], 0 offset:416 ; 4-byte Folded Spill
	s_nop 0
	buffer_store_dword v9, off, s[20:23], 0 offset:420 ; 4-byte Folded Spill
	buffer_store_dword v10, off, s[20:23], 0 offset:424 ; 4-byte Folded Spill
	;; [unrolled: 1-line block ×3, first 2 shown]
	v_mul_f64 v[6:7], v[40:41], v[4:5]
	v_mul_f64 v[6:7], v[56:57], v[6:7]
	;; [unrolled: 1-line block ×4, first 2 shown]
	v_fmac_f64_e32 v[0:1], v[6:7], v[10:11]
	ds_read_b128 v[6:9], v254 offset:704
	s_waitcnt lgkmcnt(0)
	buffer_store_dword v6, off, s[20:23], 0 offset:400 ; 4-byte Folded Spill
	s_nop 0
	buffer_store_dword v7, off, s[20:23], 0 offset:404 ; 4-byte Folded Spill
	buffer_store_dword v8, off, s[20:23], 0 offset:408 ; 4-byte Folded Spill
	;; [unrolled: 1-line block ×3, first 2 shown]
	v_fmac_f64_e32 v[0:1], v[4:5], v[8:9]
	ds_read2_b64 v[8:11], v254 offset0:89 offset1:90
	s_waitcnt lgkmcnt(0)
	buffer_store_dword v8, off, s[20:23], 0 offset:384 ; 4-byte Folded Spill
	s_nop 0
	buffer_store_dword v9, off, s[20:23], 0 offset:388 ; 4-byte Folded Spill
	buffer_store_dword v10, off, s[20:23], 0 offset:392 ; 4-byte Folded Spill
	;; [unrolled: 1-line block ×3, first 2 shown]
	v_mul_f64 v[4:5], v[20:21], v[2:3]
	v_mul_f64 v[4:5], v[74:75], v[4:5]
	;; [unrolled: 1-line block ×6, first 2 shown]
	v_fmac_f64_e32 v[0:1], v[6:7], v[10:11]
	ds_read_b128 v[8:11], v254 offset:720
	s_waitcnt lgkmcnt(0)
	buffer_store_dword v8, off, s[20:23], 0 offset:368 ; 4-byte Folded Spill
	s_nop 0
	buffer_store_dword v9, off, s[20:23], 0 offset:372 ; 4-byte Folded Spill
	buffer_store_dword v10, off, s[20:23], 0 offset:376 ; 4-byte Folded Spill
	;; [unrolled: 1-line block ×3, first 2 shown]
	v_mul_f64 v[6:7], v[30:31], v[4:5]
	v_mul_f64 v[6:7], v[48:49], v[6:7]
	v_fmac_f64_e32 v[0:1], v[6:7], v[10:11]
	ds_read2_b64 v[8:11], v254 offset0:91 offset1:92
	v_mul_f64 v[6:7], v[38:39], v[4:5]
	v_mul_f64 v[6:7], v[52:53], v[6:7]
	s_waitcnt lgkmcnt(0)
	v_accvgpr_write_b32 a225, v9
	v_fmac_f64_e32 v[0:1], v[6:7], v[10:11]
	v_accvgpr_write_b32 a224, v8
	ds_read_b128 v[8:11], v254 offset:736
	s_waitcnt lgkmcnt(0)
	buffer_store_dword v8, off, s[20:23], 0 offset:352 ; 4-byte Folded Spill
	s_nop 0
	buffer_store_dword v9, off, s[20:23], 0 offset:356 ; 4-byte Folded Spill
	buffer_store_dword v10, off, s[20:23], 0 offset:360 ; 4-byte Folded Spill
	;; [unrolled: 1-line block ×3, first 2 shown]
	v_mul_f64 v[6:7], v[40:41], v[4:5]
	v_mul_f64 v[6:7], v[56:57], v[6:7]
	;; [unrolled: 1-line block ×4, first 2 shown]
	v_fmac_f64_e32 v[0:1], v[6:7], v[10:11]
	ds_read2_b64 v[6:9], v254 offset0:93 offset1:94
	s_waitcnt lgkmcnt(0)
	buffer_store_dword v6, off, s[20:23], 0 offset:336 ; 4-byte Folded Spill
	s_nop 0
	buffer_store_dword v7, off, s[20:23], 0 offset:340 ; 4-byte Folded Spill
	buffer_store_dword v8, off, s[20:23], 0 offset:344 ; 4-byte Folded Spill
	;; [unrolled: 1-line block ×3, first 2 shown]
	v_fmac_f64_e32 v[0:1], v[4:5], v[8:9]
	ds_read_b128 v[6:9], v254 offset:752
	s_waitcnt lgkmcnt(0)
	buffer_store_dword v6, off, s[20:23], 0 offset:320 ; 4-byte Folded Spill
	s_nop 0
	buffer_store_dword v7, off, s[20:23], 0 offset:324 ; 4-byte Folded Spill
	buffer_store_dword v8, off, s[20:23], 0 offset:328 ; 4-byte Folded Spill
	;; [unrolled: 1-line block ×3, first 2 shown]
	v_mul_f64 v[4:5], v[28:29], v[2:3]
	v_mul_f64 v[4:5], v[44:45], v[4:5]
	v_fmac_f64_e32 v[0:1], v[4:5], v[8:9]
	ds_read2_b64 v[6:9], v254 offset0:95 offset1:96
	v_mul_f64 v[4:5], v[30:31], v[2:3]
	v_mul_f64 v[4:5], v[48:49], v[4:5]
	s_waitcnt lgkmcnt(0)
	v_accvgpr_write_b32 a221, v7
	v_fmac_f64_e32 v[0:1], v[4:5], v[8:9]
	v_accvgpr_write_b32 a220, v6
	ds_read_b128 v[6:9], v254 offset:768
	s_waitcnt lgkmcnt(0)
	buffer_store_dword v6, off, s[20:23], 0 offset:304 ; 4-byte Folded Spill
	s_nop 0
	buffer_store_dword v7, off, s[20:23], 0 offset:308 ; 4-byte Folded Spill
	buffer_store_dword v8, off, s[20:23], 0 offset:312 ; 4-byte Folded Spill
	;; [unrolled: 1-line block ×3, first 2 shown]
	v_mul_f64 v[4:5], v[38:39], v[2:3]
	v_mul_f64 v[4:5], v[52:53], v[4:5]
	v_fmac_f64_e32 v[0:1], v[4:5], v[8:9]
	ds_read2_b64 v[6:9], v254 offset0:97 offset1:98
	v_mul_f64 v[4:5], v[40:41], v[2:3]
	v_mul_f64 v[4:5], v[56:57], v[4:5]
	;; [unrolled: 1-line block ×4, first 2 shown]
	s_waitcnt lgkmcnt(0)
	v_accvgpr_write_b32 a215, v7
	v_fmac_f64_e32 v[0:1], v[4:5], v[8:9]
	v_accvgpr_write_b32 a214, v6
	ds_read_b128 v[4:7], v254 offset:784
	s_waitcnt lgkmcnt(0)
	buffer_store_dword v4, off, s[20:23], 0 offset:288 ; 4-byte Folded Spill
	s_nop 0
	buffer_store_dword v5, off, s[20:23], 0 offset:292 ; 4-byte Folded Spill
	buffer_store_dword v6, off, s[20:23], 0 offset:296 ; 4-byte Folded Spill
	buffer_store_dword v7, off, s[20:23], 0 offset:300 ; 4-byte Folded Spill
	v_fmac_f64_e32 v[0:1], v[2:3], v[6:7]
	ds_read2_b64 v[2:5], v126 offset0:12 offset1:16
	s_waitcnt lgkmcnt(0)
	buffer_store_dword v2, off, s[20:23], 0 offset:1560 ; 4-byte Folded Spill
	s_nop 0
	buffer_store_dword v3, off, s[20:23], 0 offset:1564 ; 4-byte Folded Spill
	buffer_store_dword v4, off, s[20:23], 0 offset:1568 ; 4-byte Folded Spill
	;; [unrolled: 1-line block ×3, first 2 shown]
	buffer_load_dword a178, off, s[20:23], 0 offset:1736 ; 4-byte Folded Reload
	buffer_load_dword a179, off, s[20:23], 0 offset:1740 ; 4-byte Folded Reload
	;; [unrolled: 1-line block ×4, first 2 shown]
	s_waitcnt vmcnt(0)
	v_accvgpr_read_b32 v8, a178
	v_accvgpr_read_b32 v9, a179
	;; [unrolled: 1-line block ×4, first 2 shown]
	v_mul_f64 v[2:3], v[4:5], v[10:11]
	ds_read2_b64 v[8:11], v254 offset0:99 offset1:100
	v_mul_f64 v[4:5], v[22:23], v[2:3]
	v_mul_f64 v[4:5], v[62:63], v[4:5]
	;; [unrolled: 1-line block ×4, first 2 shown]
	s_waitcnt lgkmcnt(0)
	v_accvgpr_write_b32 a211, v9
	v_fmac_f64_e32 v[0:1], v[10:11], v[6:7]
	v_accvgpr_write_b32 a210, v8
	ds_read_b128 v[8:11], v254 offset:800
	s_waitcnt lgkmcnt(0)
	buffer_store_dword v8, off, s[20:23], 0 offset:272 ; 4-byte Folded Spill
	s_nop 0
	buffer_store_dword v9, off, s[20:23], 0 offset:276 ; 4-byte Folded Spill
	buffer_store_dword v10, off, s[20:23], 0 offset:280 ; 4-byte Folded Spill
	;; [unrolled: 1-line block ×3, first 2 shown]
	v_mul_f64 v[6:7], v[30:31], v[4:5]
	v_mul_f64 v[6:7], v[48:49], v[6:7]
	v_fmac_f64_e32 v[0:1], v[10:11], v[6:7]
	ds_read2_b64 v[8:11], v254 offset0:101 offset1:102
	v_mul_f64 v[6:7], v[38:39], v[4:5]
	v_mul_f64 v[6:7], v[52:53], v[6:7]
	s_waitcnt lgkmcnt(0)
	v_accvgpr_write_b32 a207, v9
	v_fmac_f64_e32 v[0:1], v[10:11], v[6:7]
	v_accvgpr_write_b32 a206, v8
	ds_read_b128 v[8:11], v254 offset:816
	s_waitcnt lgkmcnt(0)
	buffer_store_dword v8, off, s[20:23], 0 offset:256 ; 4-byte Folded Spill
	s_nop 0
	buffer_store_dword v9, off, s[20:23], 0 offset:260 ; 4-byte Folded Spill
	buffer_store_dword v10, off, s[20:23], 0 offset:264 ; 4-byte Folded Spill
	;; [unrolled: 1-line block ×3, first 2 shown]
	v_mul_f64 v[6:7], v[40:41], v[4:5]
	v_mul_f64 v[6:7], v[56:57], v[6:7]
	;; [unrolled: 1-line block ×4, first 2 shown]
	v_fmac_f64_e32 v[0:1], v[10:11], v[6:7]
	ds_read2_b64 v[6:9], v254 offset0:103 offset1:104
	s_waitcnt lgkmcnt(0)
	v_fmac_f64_e32 v[0:1], v[4:5], v[8:9]
	ds_read_b128 v[8:11], v254 offset:832
	s_waitcnt lgkmcnt(0)
	buffer_store_dword v8, off, s[20:23], 0 offset:240 ; 4-byte Folded Spill
	s_nop 0
	buffer_store_dword v9, off, s[20:23], 0 offset:244 ; 4-byte Folded Spill
	buffer_store_dword v10, off, s[20:23], 0 offset:248 ; 4-byte Folded Spill
	;; [unrolled: 1-line block ×3, first 2 shown]
	v_mul_f64 v[4:5], v[24:25], v[2:3]
	v_accvgpr_write_b32 a203, v7
	v_mul_f64 v[4:5], v[66:67], v[4:5]
	v_accvgpr_write_b32 a202, v6
	v_mul_f64 v[6:7], v[28:29], v[4:5]
	v_mul_f64 v[6:7], v[44:45], v[6:7]
	v_fmac_f64_e32 v[0:1], v[6:7], v[10:11]
	ds_read2_b64 v[8:11], v254 offset0:105 offset1:106
	v_mul_f64 v[6:7], v[30:31], v[4:5]
	v_mul_f64 v[6:7], v[48:49], v[6:7]
	s_waitcnt lgkmcnt(0)
	v_accvgpr_write_b32 a199, v9
	v_fmac_f64_e32 v[0:1], v[6:7], v[10:11]
	v_accvgpr_write_b32 a198, v8
	ds_read_b128 v[8:11], v254 offset:848
	s_waitcnt lgkmcnt(0)
	buffer_store_dword v8, off, s[20:23], 0 offset:224 ; 4-byte Folded Spill
	s_nop 0
	buffer_store_dword v9, off, s[20:23], 0 offset:228 ; 4-byte Folded Spill
	buffer_store_dword v10, off, s[20:23], 0 offset:232 ; 4-byte Folded Spill
	;; [unrolled: 1-line block ×3, first 2 shown]
	v_mul_f64 v[6:7], v[38:39], v[4:5]
	v_mul_f64 v[6:7], v[52:53], v[6:7]
	v_fmac_f64_e32 v[0:1], v[6:7], v[10:11]
	ds_read2_b64 v[8:11], v254 offset0:107 offset1:108
	v_mul_f64 v[6:7], v[40:41], v[4:5]
	v_mul_f64 v[6:7], v[56:57], v[6:7]
	;; [unrolled: 1-line block ×4, first 2 shown]
	s_waitcnt lgkmcnt(0)
	v_accvgpr_write_b32 a195, v9
	v_fmac_f64_e32 v[0:1], v[6:7], v[10:11]
	v_accvgpr_write_b32 a194, v8
	ds_read_b128 v[6:9], v254 offset:864
	s_waitcnt lgkmcnt(0)
	buffer_store_dword v6, off, s[20:23], 0 offset:208 ; 4-byte Folded Spill
	s_nop 0
	buffer_store_dword v7, off, s[20:23], 0 offset:212 ; 4-byte Folded Spill
	buffer_store_dword v8, off, s[20:23], 0 offset:216 ; 4-byte Folded Spill
	;; [unrolled: 1-line block ×3, first 2 shown]
	v_fmac_f64_e32 v[0:1], v[4:5], v[8:9]
	ds_read2_b64 v[8:11], v254 offset0:109 offset1:110
	v_mul_f64 v[4:5], v[18:19], v[2:3]
	v_mul_f64 v[4:5], v[70:71], v[4:5]
	;; [unrolled: 1-line block ×4, first 2 shown]
	s_waitcnt lgkmcnt(0)
	v_accvgpr_write_b32 a191, v9
	v_fmac_f64_e32 v[0:1], v[6:7], v[10:11]
	v_accvgpr_write_b32 a190, v8
	ds_read_b128 v[8:11], v254 offset:880
	s_waitcnt lgkmcnt(0)
	buffer_store_dword v8, off, s[20:23], 0 offset:192 ; 4-byte Folded Spill
	s_nop 0
	buffer_store_dword v9, off, s[20:23], 0 offset:196 ; 4-byte Folded Spill
	buffer_store_dword v10, off, s[20:23], 0 offset:200 ; 4-byte Folded Spill
	;; [unrolled: 1-line block ×3, first 2 shown]
	v_mul_f64 v[6:7], v[30:31], v[4:5]
	v_mul_f64 v[6:7], v[48:49], v[6:7]
	v_fmac_f64_e32 v[0:1], v[6:7], v[10:11]
	ds_read2_b64 v[8:11], v254 offset0:111 offset1:112
	v_mul_f64 v[6:7], v[38:39], v[4:5]
	v_mul_f64 v[6:7], v[52:53], v[6:7]
	s_waitcnt lgkmcnt(0)
	v_accvgpr_write_b32 a187, v9
	v_fmac_f64_e32 v[0:1], v[6:7], v[10:11]
	v_accvgpr_write_b32 a186, v8
	ds_read_b128 v[8:11], v254 offset:896
	v_mul_f64 v[6:7], v[40:41], v[4:5]
	v_mul_f64 v[6:7], v[56:57], v[6:7]
	;; [unrolled: 1-line block ×4, first 2 shown]
	s_waitcnt lgkmcnt(0)
	v_accvgpr_write_b32 a167, v9
	v_fmac_f64_e32 v[0:1], v[6:7], v[10:11]
	v_accvgpr_write_b32 a166, v8
	ds_read2_b64 v[6:9], v254 offset0:113 offset1:114
	s_waitcnt lgkmcnt(0)
	v_fmac_f64_e32 v[0:1], v[4:5], v[8:9]
	ds_read_b128 v[8:11], v254 offset:912
	s_waitcnt lgkmcnt(0)
	buffer_store_dword v8, off, s[20:23], 0 offset:176 ; 4-byte Folded Spill
	s_nop 0
	buffer_store_dword v9, off, s[20:23], 0 offset:180 ; 4-byte Folded Spill
	buffer_store_dword v10, off, s[20:23], 0 offset:184 ; 4-byte Folded Spill
	;; [unrolled: 1-line block ×3, first 2 shown]
	v_mul_f64 v[4:5], v[20:21], v[2:3]
	v_accvgpr_write_b32 a171, v7
	v_mul_f64 v[4:5], v[74:75], v[4:5]
	v_accvgpr_write_b32 a170, v6
	v_mul_f64 v[6:7], v[28:29], v[4:5]
	v_mul_f64 v[6:7], v[44:45], v[6:7]
	;; [unrolled: 1-line block ×4, first 2 shown]
	v_fmac_f64_e32 v[0:1], v[6:7], v[10:11]
	ds_read2_b64 v[8:11], v254 offset0:115 offset1:116
	s_waitcnt lgkmcnt(0)
	buffer_store_dword v8, off, s[20:23], 0 offset:160 ; 4-byte Folded Spill
	s_nop 0
	buffer_store_dword v9, off, s[20:23], 0 offset:164 ; 4-byte Folded Spill
	buffer_store_dword v10, off, s[20:23], 0 offset:168 ; 4-byte Folded Spill
	;; [unrolled: 1-line block ×3, first 2 shown]
	v_mul_f64 v[6:7], v[30:31], v[4:5]
	v_mul_f64 v[6:7], v[48:49], v[6:7]
	v_fmac_f64_e32 v[0:1], v[6:7], v[10:11]
	ds_read_b128 v[8:11], v254 offset:928
	s_waitcnt lgkmcnt(0)
	buffer_store_dword v8, off, s[20:23], 0 offset:144 ; 4-byte Folded Spill
	s_nop 0
	buffer_store_dword v9, off, s[20:23], 0 offset:148 ; 4-byte Folded Spill
	buffer_store_dword v10, off, s[20:23], 0 offset:152 ; 4-byte Folded Spill
	;; [unrolled: 1-line block ×3, first 2 shown]
	v_mul_f64 v[6:7], v[38:39], v[4:5]
	v_mul_f64 v[6:7], v[52:53], v[6:7]
	v_fmac_f64_e32 v[0:1], v[6:7], v[10:11]
	ds_read2_b64 v[8:11], v254 offset0:117 offset1:118
	s_waitcnt lgkmcnt(0)
	buffer_store_dword v8, off, s[20:23], 0 offset:128 ; 4-byte Folded Spill
	s_nop 0
	buffer_store_dword v9, off, s[20:23], 0 offset:132 ; 4-byte Folded Spill
	buffer_store_dword v10, off, s[20:23], 0 offset:136 ; 4-byte Folded Spill
	buffer_store_dword v11, off, s[20:23], 0 offset:140 ; 4-byte Folded Spill
	v_mul_f64 v[6:7], v[40:41], v[4:5]
	v_mul_f64 v[6:7], v[56:57], v[6:7]
	;; [unrolled: 1-line block ×4, first 2 shown]
	v_fmac_f64_e32 v[0:1], v[6:7], v[10:11]
	ds_read_b128 v[6:9], v254 offset:944
	s_waitcnt lgkmcnt(0)
	buffer_store_dword v6, off, s[20:23], 0 offset:96 ; 4-byte Folded Spill
	s_nop 0
	buffer_store_dword v7, off, s[20:23], 0 offset:100 ; 4-byte Folded Spill
	buffer_store_dword v8, off, s[20:23], 0 offset:104 ; 4-byte Folded Spill
	buffer_store_dword v9, off, s[20:23], 0 offset:108 ; 4-byte Folded Spill
	ds_read2_b64 v[146:149], v254 offset0:119 offset1:120
	s_waitcnt lgkmcnt(0)
	v_accvgpr_write_b32 a114, v146
	v_accvgpr_write_b32 a115, v147
	v_fmac_f64_e32 v[0:1], v[4:5], v[8:9]
	ds_read_b128 v[6:9], v254 offset:960
	v_mul_f64 v[4:5], v[28:29], v[2:3]
	v_mul_f64 v[4:5], v[44:45], v[4:5]
	v_fmac_f64_e32 v[0:1], v[4:5], v[148:149]
	v_mul_f64 v[4:5], v[30:31], v[2:3]
	v_mul_f64 v[4:5], v[48:49], v[4:5]
	s_waitcnt lgkmcnt(0)
	v_accvgpr_write_b32 a229, v7
	v_fmac_f64_e32 v[0:1], v[4:5], v[8:9]
	v_accvgpr_write_b32 a228, v6
	ds_read2_b64 v[6:9], v254 offset0:121 offset1:122
	s_waitcnt lgkmcnt(0)
	buffer_store_dword v6, off, s[20:23], 0 offset:112 ; 4-byte Folded Spill
	s_nop 0
	buffer_store_dword v7, off, s[20:23], 0 offset:116 ; 4-byte Folded Spill
	buffer_store_dword v8, off, s[20:23], 0 offset:120 ; 4-byte Folded Spill
	;; [unrolled: 1-line block ×3, first 2 shown]
	v_mul_f64 v[4:5], v[38:39], v[2:3]
	v_mul_f64 v[4:5], v[52:53], v[4:5]
	v_fmac_f64_e32 v[0:1], v[4:5], v[8:9]
	ds_read_b128 v[6:9], v254 offset:976
	v_mul_f64 v[4:5], v[40:41], v[2:3]
	v_mul_f64 v[4:5], v[56:57], v[4:5]
	;; [unrolled: 1-line block ×4, first 2 shown]
	s_waitcnt lgkmcnt(0)
	v_accvgpr_write_b32 a243, v7
	v_fmac_f64_e32 v[0:1], v[4:5], v[8:9]
	v_accvgpr_write_b32 a242, v6
	ds_read2_b64 v[4:7], v254 offset0:123 offset1:124
	s_waitcnt lgkmcnt(0)
	buffer_store_dword v4, off, s[20:23], 0 offset:80 ; 4-byte Folded Spill
	s_nop 0
	buffer_store_dword v5, off, s[20:23], 0 offset:84 ; 4-byte Folded Spill
	buffer_store_dword v6, off, s[20:23], 0 offset:88 ; 4-byte Folded Spill
	;; [unrolled: 1-line block ×3, first 2 shown]
	buffer_load_dword v125, off, s[20:23], 0 offset:1928 ; 4-byte Folded Reload
	v_fmac_f64_e32 v[0:1], v[2:3], v[6:7]
	global_store_dwordx2 v[214:215], v[0:1], off offset:-4096
	s_waitcnt vmcnt(1)
	ds_read_b64 v[16:17], v125
	ds_read2_b64 v[160:163], v254 offset0:124 offset1:126
	ds_read2_b64 v[188:191], v125 offset1:4
	ds_read2_b64 v[184:187], v254 offset0:129 offset1:130
	ds_read2_b64 v[180:183], v125 offset0:4 offset1:8
	;; [unrolled: 1-line block ×7, first 2 shown]
	buffer_load_dword v124, off, s[20:23], 0 offset:2036 ; 4-byte Folded Reload
	s_waitcnt vmcnt(0)
	ds_read_b64 v[18:19], v124
	ds_read_b128 v[80:83], v254 offset:1008
	ds_read2_b64 v[34:37], v124 offset1:4
	ds_read_b128 v[76:79], v254 offset:1040
	ds_read2_b64 v[30:33], v124 offset0:4 offset1:8
	ds_read_b128 v[72:75], v254 offset:1072
	ds_read2_b64 v[26:29], v124 offset0:8 offset1:12
	;; [unrolled: 2-line block ×3, first 2 shown]
	ds_read_b128 v[64:67], v254 offset:1136
	ds_read_b64 v[4:5], v126
	ds_read2_b64 v[48:51], v126 offset1:4
	s_waitcnt lgkmcnt(0)
	buffer_store_dword v48, off, s[20:23], 0 offset:1496 ; 4-byte Folded Spill
	s_nop 0
	buffer_store_dword v49, off, s[20:23], 0 offset:1500 ; 4-byte Folded Spill
	buffer_store_dword v50, off, s[20:23], 0 offset:1504 ; 4-byte Folded Spill
	;; [unrolled: 1-line block ×3, first 2 shown]
	ds_read_b64 v[6:7], v255
	ds_read_b64 v[8:9], v255 offset:32
	ds_read_b64 v[12:13], v254
	ds_read_b128 v[46:49], v254
	ds_read_b128 v[40:43], v254 offset:16
	s_waitcnt lgkmcnt(0)
	buffer_store_dword v40, off, s[20:23], 0 offset:1448 ; 4-byte Folded Spill
	s_nop 0
	buffer_store_dword v41, off, s[20:23], 0 offset:1452 ; 4-byte Folded Spill
	buffer_store_dword v42, off, s[20:23], 0 offset:1456 ; 4-byte Folded Spill
	;; [unrolled: 1-line block ×3, first 2 shown]
	ds_read_b128 v[38:41], v254 offset:32
	v_mul_f64 v[4:5], v[4:5], v[6:7]
	v_mul_f64 v[6:7], v[18:19], v[4:5]
	;; [unrolled: 1-line block ×5, first 2 shown]
	s_waitcnt lgkmcnt(0)
	buffer_store_dword v38, off, s[20:23], 0 offset:1256 ; 4-byte Folded Spill
	s_nop 0
	buffer_store_dword v39, off, s[20:23], 0 offset:1260 ; 4-byte Folded Spill
	buffer_store_dword v40, off, s[20:23], 0 offset:1264 ; 4-byte Folded Spill
	;; [unrolled: 1-line block ×3, first 2 shown]
	v_fma_f64 v[20:21], v[12:13], v[10:11], 0
	ds_read_b128 v[12:15], v254 offset:48
	s_waitcnt lgkmcnt(0)
	buffer_store_dword v12, off, s[20:23], 0 offset:1640 ; 4-byte Folded Spill
	s_nop 0
	buffer_store_dword v13, off, s[20:23], 0 offset:1644 ; 4-byte Folded Spill
	buffer_store_dword v14, off, s[20:23], 0 offset:1648 ; 4-byte Folded Spill
	;; [unrolled: 1-line block ×3, first 2 shown]
	v_accvgpr_write_b32 a183, v47
	v_accvgpr_write_b32 a182, v46
	ds_read2_b64 v[44:47], v254 offset0:1 offset1:2
	s_waitcnt lgkmcnt(0)
	buffer_store_dword v44, off, s[20:23], 0 offset:1464 ; 4-byte Folded Spill
	s_nop 0
	buffer_store_dword v45, off, s[20:23], 0 offset:1468 ; 4-byte Folded Spill
	buffer_store_dword v46, off, s[20:23], 0 offset:1472 ; 4-byte Folded Spill
	;; [unrolled: 1-line block ×3, first 2 shown]
	v_mul_f64 v[10:11], v[190:191], v[6:7]
	v_mul_f64 v[10:11], v[186:187], v[10:11]
	v_fmac_f64_e32 v[20:21], v[48:49], v[10:11]
	v_mul_f64 v[10:11], v[182:183], v[6:7]
	v_mul_f64 v[10:11], v[178:179], v[10:11]
	v_pk_mov_b32 v[208:209], v[30:31], v[30:31] op_sel:[0,1]
	v_fmac_f64_e32 v[20:21], v[46:47], v[10:11]
	v_mul_f64 v[10:11], v[174:175], v[6:7]
	v_mul_f64 v[10:11], v[170:171], v[10:11]
	v_fmac_f64_e32 v[20:21], v[42:43], v[10:11]
	ds_read2_b64 v[42:45], v254 offset0:3 offset1:4
	v_mul_f64 v[6:7], v[2:3], v[6:7]
	v_mul_f64 v[6:7], v[166:167], v[6:7]
	s_waitcnt lgkmcnt(0)
	v_fmac_f64_e32 v[20:21], v[6:7], v[44:45]
	v_mul_f64 v[6:7], v[36:37], v[4:5]
	v_mul_f64 v[6:7], v[78:79], v[6:7]
	v_mul_f64 v[10:11], v[16:17], v[6:7]
	v_mul_f64 v[10:11], v[162:163], v[10:11]
	v_fmac_f64_e32 v[20:21], v[10:11], v[40:41]
	ds_read2_b64 v[38:41], v254 offset0:5 offset1:6
	s_waitcnt lgkmcnt(0)
	buffer_store_dword v38, off, s[20:23], 0 offset:1240 ; 4-byte Folded Spill
	s_nop 0
	buffer_store_dword v39, off, s[20:23], 0 offset:1244 ; 4-byte Folded Spill
	buffer_store_dword v40, off, s[20:23], 0 offset:1248 ; 4-byte Folded Spill
	;; [unrolled: 1-line block ×3, first 2 shown]
	v_mul_f64 v[10:11], v[190:191], v[6:7]
	v_mul_f64 v[10:11], v[186:187], v[10:11]
	v_accvgpr_write_b32 a127, v43
	v_accvgpr_write_b32 a126, v42
	v_fmac_f64_e32 v[20:21], v[10:11], v[40:41]
	v_mul_f64 v[10:11], v[182:183], v[6:7]
	v_mul_f64 v[10:11], v[178:179], v[10:11]
	v_fmac_f64_e32 v[20:21], v[10:11], v[14:15]
	ds_read2_b64 v[12:15], v254 offset0:7 offset1:8
	v_mul_f64 v[10:11], v[174:175], v[6:7]
	v_mul_f64 v[10:11], v[170:171], v[10:11]
	;; [unrolled: 1-line block ×4, first 2 shown]
	s_waitcnt lgkmcnt(0)
	v_accvgpr_write_b32 a131, v13
	v_fmac_f64_e32 v[20:21], v[10:11], v[14:15]
	v_accvgpr_write_b32 a130, v12
	ds_read_b128 v[10:13], v254 offset:64
	s_waitcnt lgkmcnt(0)
	buffer_store_dword v10, off, s[20:23], 0 offset:1272 ; 4-byte Folded Spill
	s_nop 0
	buffer_store_dword v11, off, s[20:23], 0 offset:1276 ; 4-byte Folded Spill
	buffer_store_dword v12, off, s[20:23], 0 offset:1280 ; 4-byte Folded Spill
	;; [unrolled: 1-line block ×3, first 2 shown]
	v_fmac_f64_e32 v[20:21], v[6:7], v[12:13]
	ds_read2_b64 v[12:15], v254 offset0:9 offset1:10
	s_waitcnt lgkmcnt(0)
	buffer_store_dword v12, off, s[20:23], 0 offset:1288 ; 4-byte Folded Spill
	s_nop 0
	buffer_store_dword v13, off, s[20:23], 0 offset:1292 ; 4-byte Folded Spill
	buffer_store_dword v14, off, s[20:23], 0 offset:1296 ; 4-byte Folded Spill
	;; [unrolled: 1-line block ×3, first 2 shown]
	v_mul_f64 v[6:7], v[32:33], v[4:5]
	v_mul_f64 v[6:7], v[74:75], v[6:7]
	;; [unrolled: 1-line block ×4, first 2 shown]
	v_fmac_f64_e32 v[20:21], v[10:11], v[14:15]
	ds_read_b128 v[12:15], v254 offset:80
	v_mul_f64 v[10:11], v[190:191], v[6:7]
	v_mul_f64 v[10:11], v[186:187], v[10:11]
	s_waitcnt lgkmcnt(0)
	v_accvgpr_write_b32 a135, v13
	v_fmac_f64_e32 v[20:21], v[10:11], v[14:15]
	v_accvgpr_write_b32 a134, v12
	ds_read2_b64 v[12:15], v254 offset0:11 offset1:12
	v_mul_f64 v[10:11], v[182:183], v[6:7]
	v_mul_f64 v[10:11], v[178:179], v[10:11]
	s_waitcnt lgkmcnt(0)
	v_accvgpr_write_b32 a139, v13
	v_fmac_f64_e32 v[20:21], v[10:11], v[14:15]
	v_accvgpr_write_b32 a138, v12
	ds_read_b128 v[12:15], v254 offset:96
	s_waitcnt lgkmcnt(0)
	buffer_store_dword v12, off, s[20:23], 0 offset:1304 ; 4-byte Folded Spill
	s_nop 0
	buffer_store_dword v13, off, s[20:23], 0 offset:1308 ; 4-byte Folded Spill
	buffer_store_dword v14, off, s[20:23], 0 offset:1312 ; 4-byte Folded Spill
	;; [unrolled: 1-line block ×3, first 2 shown]
	v_mul_f64 v[10:11], v[174:175], v[6:7]
	v_mul_f64 v[10:11], v[170:171], v[10:11]
	;; [unrolled: 1-line block ×4, first 2 shown]
	v_fmac_f64_e32 v[20:21], v[10:11], v[14:15]
	ds_read2_b64 v[10:13], v254 offset0:13 offset1:14
	s_waitcnt lgkmcnt(0)
	v_fmac_f64_e32 v[20:21], v[6:7], v[12:13]
	ds_read_b128 v[12:15], v254 offset:112
	v_mul_f64 v[6:7], v[28:29], v[4:5]
	v_accvgpr_write_b32 a143, v11
	v_mul_f64 v[6:7], v[70:71], v[6:7]
	v_accvgpr_write_b32 a142, v10
	v_mul_f64 v[10:11], v[16:17], v[6:7]
	v_mul_f64 v[10:11], v[162:163], v[10:11]
	s_waitcnt lgkmcnt(0)
	v_accvgpr_write_b32 a147, v13
	v_fmac_f64_e32 v[20:21], v[10:11], v[14:15]
	v_accvgpr_write_b32 a146, v12
	ds_read2_b64 v[12:15], v254 offset0:15 offset1:16
	s_waitcnt lgkmcnt(0)
	buffer_store_dword v12, off, s[20:23], 0 offset:1336 ; 4-byte Folded Spill
	s_nop 0
	buffer_store_dword v13, off, s[20:23], 0 offset:1340 ; 4-byte Folded Spill
	buffer_store_dword v14, off, s[20:23], 0 offset:1344 ; 4-byte Folded Spill
	;; [unrolled: 1-line block ×3, first 2 shown]
	v_mul_f64 v[10:11], v[190:191], v[6:7]
	v_mul_f64 v[10:11], v[186:187], v[10:11]
	;; [unrolled: 1-line block ×4, first 2 shown]
	v_fmac_f64_e32 v[20:21], v[10:11], v[14:15]
	ds_read_b128 v[12:15], v254 offset:128
	s_waitcnt lgkmcnt(0)
	buffer_store_dword v12, off, s[20:23], 0 offset:1352 ; 4-byte Folded Spill
	s_nop 0
	buffer_store_dword v13, off, s[20:23], 0 offset:1356 ; 4-byte Folded Spill
	buffer_store_dword v14, off, s[20:23], 0 offset:1360 ; 4-byte Folded Spill
	;; [unrolled: 1-line block ×3, first 2 shown]
	v_mul_f64 v[10:11], v[182:183], v[6:7]
	v_mul_f64 v[10:11], v[178:179], v[10:11]
	v_fmac_f64_e32 v[20:21], v[10:11], v[14:15]
	ds_read2_b64 v[12:15], v254 offset0:17 offset1:18
	v_mul_f64 v[10:11], v[174:175], v[6:7]
	v_mul_f64 v[10:11], v[170:171], v[10:11]
	;; [unrolled: 1-line block ×4, first 2 shown]
	s_waitcnt lgkmcnt(0)
	v_accvgpr_write_b32 a151, v13
	v_fmac_f64_e32 v[20:21], v[10:11], v[14:15]
	v_accvgpr_write_b32 a150, v12
	ds_read_b128 v[10:13], v254 offset:144
	s_waitcnt lgkmcnt(0)
	buffer_store_dword v10, off, s[20:23], 0 offset:1368 ; 4-byte Folded Spill
	s_nop 0
	buffer_store_dword v11, off, s[20:23], 0 offset:1372 ; 4-byte Folded Spill
	buffer_store_dword v12, off, s[20:23], 0 offset:1376 ; 4-byte Folded Spill
	;; [unrolled: 1-line block ×3, first 2 shown]
	v_fmac_f64_e32 v[20:21], v[6:7], v[12:13]
	ds_read2_b64 v[10:13], v254 offset0:19 offset1:20
	s_waitcnt lgkmcnt(0)
	buffer_store_dword v10, off, s[20:23], 0 offset:1384 ; 4-byte Folded Spill
	s_nop 0
	buffer_store_dword v11, off, s[20:23], 0 offset:1388 ; 4-byte Folded Spill
	buffer_store_dword v12, off, s[20:23], 0 offset:1392 ; 4-byte Folded Spill
	;; [unrolled: 1-line block ×3, first 2 shown]
	v_mul_f64 v[6:7], v[16:17], v[4:5]
	v_mul_f64 v[6:7], v[162:163], v[6:7]
	v_fmac_f64_e32 v[20:21], v[6:7], v[12:13]
	ds_read_b128 v[10:13], v254 offset:160
	v_mul_f64 v[6:7], v[190:191], v[4:5]
	v_mul_f64 v[6:7], v[186:187], v[6:7]
	s_waitcnt lgkmcnt(0)
	v_accvgpr_write_b32 a155, v11
	v_fmac_f64_e32 v[20:21], v[6:7], v[12:13]
	v_accvgpr_write_b32 a154, v10
	ds_read2_b64 v[10:13], v254 offset0:21 offset1:22
	v_mul_f64 v[6:7], v[182:183], v[4:5]
	v_mul_f64 v[6:7], v[178:179], v[6:7]
	s_waitcnt lgkmcnt(0)
	v_accvgpr_write_b32 a159, v11
	v_fmac_f64_e32 v[20:21], v[6:7], v[12:13]
	v_accvgpr_write_b32 a158, v10
	ds_read_b128 v[10:13], v254 offset:176
	s_waitcnt lgkmcnt(0)
	buffer_store_dword v10, off, s[20:23], 0 offset:1400 ; 4-byte Folded Spill
	s_nop 0
	buffer_store_dword v11, off, s[20:23], 0 offset:1404 ; 4-byte Folded Spill
	buffer_store_dword v12, off, s[20:23], 0 offset:1408 ; 4-byte Folded Spill
	;; [unrolled: 1-line block ×3, first 2 shown]
	v_mul_f64 v[6:7], v[174:175], v[4:5]
	v_mul_f64 v[6:7], v[170:171], v[6:7]
	;; [unrolled: 1-line block ×4, first 2 shown]
	v_fmac_f64_e32 v[20:21], v[6:7], v[12:13]
	ds_read2_b64 v[10:13], v254 offset0:23 offset1:24
	s_waitcnt lgkmcnt(0)
	buffer_store_dword v10, off, s[20:23], 0 offset:1432 ; 4-byte Folded Spill
	s_nop 0
	buffer_store_dword v11, off, s[20:23], 0 offset:1436 ; 4-byte Folded Spill
	buffer_store_dword v12, off, s[20:23], 0 offset:1440 ; 4-byte Folded Spill
	;; [unrolled: 1-line block ×3, first 2 shown]
	v_fmac_f64_e32 v[20:21], v[4:5], v[12:13]
	ds_read_b128 v[10:13], v254 offset:192
	v_mul_f64 v[4:5], v[50:51], v[8:9]
	v_mul_f64 v[6:7], v[18:19], v[4:5]
	;; [unrolled: 1-line block ×5, first 2 shown]
	s_waitcnt lgkmcnt(0)
	v_accvgpr_write_b32 a163, v11
	v_fmac_f64_e32 v[20:21], v[12:13], v[8:9]
	v_accvgpr_write_b32 a162, v10
	ds_read2_b64 v[10:13], v254 offset0:25 offset1:26
	s_waitcnt lgkmcnt(0)
	buffer_store_dword v10, off, s[20:23], 0 offset:1128 ; 4-byte Folded Spill
	s_nop 0
	buffer_store_dword v11, off, s[20:23], 0 offset:1132 ; 4-byte Folded Spill
	buffer_store_dword v12, off, s[20:23], 0 offset:1136 ; 4-byte Folded Spill
	;; [unrolled: 1-line block ×3, first 2 shown]
	v_mul_f64 v[8:9], v[190:191], v[6:7]
	v_mul_f64 v[8:9], v[186:187], v[8:9]
	v_fmac_f64_e32 v[20:21], v[12:13], v[8:9]
	ds_read_b128 v[10:13], v254 offset:208
	s_waitcnt lgkmcnt(0)
	buffer_store_dword v10, off, s[20:23], 0 offset:1144 ; 4-byte Folded Spill
	s_nop 0
	buffer_store_dword v11, off, s[20:23], 0 offset:1148 ; 4-byte Folded Spill
	buffer_store_dword v12, off, s[20:23], 0 offset:1152 ; 4-byte Folded Spill
	;; [unrolled: 1-line block ×3, first 2 shown]
	v_mul_f64 v[8:9], v[182:183], v[6:7]
	v_mul_f64 v[8:9], v[178:179], v[8:9]
	v_fmac_f64_e32 v[20:21], v[12:13], v[8:9]
	ds_read2_b64 v[10:13], v254 offset0:27 offset1:28
	s_waitcnt lgkmcnt(0)
	buffer_store_dword v10, off, s[20:23], 0 offset:1192 ; 4-byte Folded Spill
	s_nop 0
	buffer_store_dword v11, off, s[20:23], 0 offset:1196 ; 4-byte Folded Spill
	buffer_store_dword v12, off, s[20:23], 0 offset:1200 ; 4-byte Folded Spill
	;; [unrolled: 1-line block ×3, first 2 shown]
	v_mul_f64 v[8:9], v[174:175], v[6:7]
	v_mul_f64 v[8:9], v[170:171], v[8:9]
	;; [unrolled: 1-line block ×4, first 2 shown]
	v_fmac_f64_e32 v[20:21], v[12:13], v[8:9]
	ds_read_b128 v[8:11], v254 offset:224
	s_waitcnt lgkmcnt(0)
	v_fmac_f64_e32 v[20:21], v[6:7], v[10:11]
	ds_read2_b64 v[10:13], v254 offset0:29 offset1:30
	v_mul_f64 v[6:7], v[36:37], v[4:5]
	v_accvgpr_write_b32 a119, v9
	v_mul_f64 v[6:7], v[78:79], v[6:7]
	v_accvgpr_write_b32 a118, v8
	v_mul_f64 v[8:9], v[16:17], v[6:7]
	v_mul_f64 v[8:9], v[162:163], v[8:9]
	s_waitcnt lgkmcnt(0)
	v_accvgpr_write_b32 a123, v11
	v_fmac_f64_e32 v[20:21], v[8:9], v[12:13]
	v_accvgpr_write_b32 a122, v10
	ds_read_b128 v[10:13], v254 offset:240
	s_waitcnt lgkmcnt(0)
	buffer_store_dword v10, off, s[20:23], 0 offset:1208 ; 4-byte Folded Spill
	s_nop 0
	buffer_store_dword v11, off, s[20:23], 0 offset:1212 ; 4-byte Folded Spill
	buffer_store_dword v12, off, s[20:23], 0 offset:1216 ; 4-byte Folded Spill
	buffer_store_dword v13, off, s[20:23], 0 offset:1220 ; 4-byte Folded Spill
	v_mul_f64 v[8:9], v[190:191], v[6:7]
	v_mul_f64 v[8:9], v[186:187], v[8:9]
	v_fmac_f64_e32 v[20:21], v[8:9], v[12:13]
	ds_read2_b64 v[10:13], v254 offset0:31 offset1:32
	s_waitcnt lgkmcnt(0)
	buffer_store_dword v10, off, s[20:23], 0 offset:1224 ; 4-byte Folded Spill
	s_nop 0
	buffer_store_dword v11, off, s[20:23], 0 offset:1228 ; 4-byte Folded Spill
	buffer_store_dword v12, off, s[20:23], 0 offset:1232 ; 4-byte Folded Spill
	;; [unrolled: 1-line block ×3, first 2 shown]
	v_mul_f64 v[8:9], v[182:183], v[6:7]
	v_mul_f64 v[8:9], v[178:179], v[8:9]
	v_fmac_f64_e32 v[20:21], v[8:9], v[12:13]
	ds_read2_b64 v[10:13], v254 offset0:32 offset1:33
	v_mul_f64 v[8:9], v[174:175], v[6:7]
	v_mul_f64 v[8:9], v[170:171], v[8:9]
	;; [unrolled: 1-line block ×4, first 2 shown]
	s_waitcnt lgkmcnt(0)
	v_fmac_f64_e32 v[20:21], v[8:9], v[12:13]
	v_pk_mov_b32 v[154:155], v[10:11], v[10:11] op_sel:[0,1]
	ds_read2_b64 v[8:11], v254 offset0:33 offset1:34
	s_waitcnt lgkmcnt(0)
	v_fmac_f64_e32 v[20:21], v[6:7], v[10:11]
	ds_read2_b64 v[10:13], v254 offset0:34 offset1:35
	s_waitcnt lgkmcnt(0)
	buffer_store_dword v10, off, s[20:23], 0 offset:1656 ; 4-byte Folded Spill
	s_nop 0
	buffer_store_dword v11, off, s[20:23], 0 offset:1660 ; 4-byte Folded Spill
	buffer_store_dword v12, off, s[20:23], 0 offset:1664 ; 4-byte Folded Spill
	;; [unrolled: 1-line block ×3, first 2 shown]
	v_mul_f64 v[6:7], v[32:33], v[4:5]
	v_accvgpr_write_b32 a51, v9
	v_mul_f64 v[6:7], v[74:75], v[6:7]
	v_accvgpr_write_b32 a50, v8
	v_mul_f64 v[8:9], v[16:17], v[6:7]
	v_mul_f64 v[8:9], v[162:163], v[8:9]
	v_fmac_f64_e32 v[20:21], v[8:9], v[12:13]
	ds_read2_b64 v[10:13], v254 offset0:35 offset1:36
	s_waitcnt lgkmcnt(0)
	buffer_store_dword v10, off, s[20:23], 0 offset:1672 ; 4-byte Folded Spill
	s_nop 0
	buffer_store_dword v11, off, s[20:23], 0 offset:1676 ; 4-byte Folded Spill
	buffer_store_dword v12, off, s[20:23], 0 offset:1680 ; 4-byte Folded Spill
	;; [unrolled: 1-line block ×3, first 2 shown]
	v_mul_f64 v[8:9], v[190:191], v[6:7]
	v_mul_f64 v[8:9], v[186:187], v[8:9]
	v_fmac_f64_e32 v[20:21], v[8:9], v[12:13]
	ds_read2_b64 v[10:13], v254 offset0:36 offset1:37
	v_mul_f64 v[8:9], v[182:183], v[6:7]
	v_mul_f64 v[8:9], v[178:179], v[8:9]
	s_waitcnt lgkmcnt(0)
	v_fmac_f64_e32 v[20:21], v[8:9], v[12:13]
	v_pk_mov_b32 v[156:157], v[10:11], v[10:11] op_sel:[0,1]
	ds_read2_b64 v[10:13], v254 offset0:37 offset1:38
	s_waitcnt lgkmcnt(0)
	buffer_store_dword v10, off, s[20:23], 0 offset:1576 ; 4-byte Folded Spill
	s_nop 0
	buffer_store_dword v11, off, s[20:23], 0 offset:1580 ; 4-byte Folded Spill
	buffer_store_dword v12, off, s[20:23], 0 offset:1584 ; 4-byte Folded Spill
	buffer_store_dword v13, off, s[20:23], 0 offset:1588 ; 4-byte Folded Spill
	v_mul_f64 v[8:9], v[174:175], v[6:7]
	v_mul_f64 v[8:9], v[170:171], v[8:9]
	;; [unrolled: 1-line block ×4, first 2 shown]
	v_fmac_f64_e32 v[20:21], v[8:9], v[12:13]
	ds_read2_b64 v[8:11], v254 offset0:38 offset1:39
	s_waitcnt lgkmcnt(0)
	buffer_store_dword v8, off, s[20:23], 0 offset:1704 ; 4-byte Folded Spill
	s_nop 0
	buffer_store_dword v9, off, s[20:23], 0 offset:1708 ; 4-byte Folded Spill
	buffer_store_dword v10, off, s[20:23], 0 offset:1712 ; 4-byte Folded Spill
	;; [unrolled: 1-line block ×3, first 2 shown]
	v_fmac_f64_e32 v[20:21], v[6:7], v[10:11]
	ds_read2_b64 v[10:13], v254 offset0:39 offset1:40
	s_waitcnt lgkmcnt(0)
	buffer_store_dword v10, off, s[20:23], 0 offset:1624 ; 4-byte Folded Spill
	s_nop 0
	buffer_store_dword v11, off, s[20:23], 0 offset:1628 ; 4-byte Folded Spill
	buffer_store_dword v12, off, s[20:23], 0 offset:1632 ; 4-byte Folded Spill
	;; [unrolled: 1-line block ×3, first 2 shown]
	v_mul_f64 v[6:7], v[28:29], v[4:5]
	v_mul_f64 v[6:7], v[70:71], v[6:7]
	;; [unrolled: 1-line block ×6, first 2 shown]
	v_fmac_f64_e32 v[20:21], v[8:9], v[12:13]
	ds_read2_b64 v[10:13], v254 offset0:40 offset1:41
	s_waitcnt lgkmcnt(0)
	buffer_store_dword v10, off, s[20:23], 0 offset:1608 ; 4-byte Folded Spill
	s_nop 0
	buffer_store_dword v11, off, s[20:23], 0 offset:1612 ; 4-byte Folded Spill
	buffer_store_dword v12, off, s[20:23], 0 offset:1616 ; 4-byte Folded Spill
	;; [unrolled: 1-line block ×3, first 2 shown]
	v_mul_f64 v[8:9], v[190:191], v[6:7]
	v_mul_f64 v[8:9], v[186:187], v[8:9]
	v_fmac_f64_e32 v[20:21], v[8:9], v[12:13]
	ds_read2_b64 v[10:13], v254 offset0:41 offset1:42
	v_mul_f64 v[8:9], v[182:183], v[6:7]
	v_mul_f64 v[8:9], v[178:179], v[8:9]
	s_waitcnt lgkmcnt(0)
	v_accvgpr_write_b32 a253, v11
	v_fmac_f64_e32 v[20:21], v[8:9], v[12:13]
	v_accvgpr_write_b32 a252, v10
	ds_read2_b64 v[10:13], v254 offset0:42 offset1:43
	v_mul_f64 v[8:9], v[174:175], v[6:7]
	v_mul_f64 v[8:9], v[170:171], v[8:9]
	;; [unrolled: 1-line block ×4, first 2 shown]
	s_waitcnt lgkmcnt(0)
	v_accvgpr_write_b32 a251, v11
	v_fmac_f64_e32 v[20:21], v[8:9], v[12:13]
	v_accvgpr_write_b32 a250, v10
	ds_read2_b64 v[8:11], v254 offset0:43 offset1:44
	s_waitcnt lgkmcnt(0)
	v_accvgpr_write_b32 a247, v9
	v_fmac_f64_e32 v[20:21], v[6:7], v[10:11]
	v_accvgpr_write_b32 a246, v8
	ds_read2_b64 v[8:11], v254 offset0:44 offset1:45
	v_mul_f64 v[6:7], v[16:17], v[4:5]
	v_mul_f64 v[6:7], v[162:163], v[6:7]
	s_waitcnt lgkmcnt(0)
	v_accvgpr_write_b32 a241, v9
	v_fmac_f64_e32 v[20:21], v[6:7], v[10:11]
	v_accvgpr_write_b32 a240, v8
	ds_read2_b64 v[8:11], v254 offset0:45 offset1:46
	v_mul_f64 v[6:7], v[190:191], v[4:5]
	v_mul_f64 v[6:7], v[186:187], v[6:7]
	;; [unrolled: 7-line block ×3, first 2 shown]
	s_waitcnt lgkmcnt(0)
	v_fmac_f64_e32 v[20:21], v[6:7], v[10:11]
	v_pk_mov_b32 v[140:141], v[8:9], v[8:9] op_sel:[0,1]
	ds_read2_b64 v[8:11], v254 offset0:47 offset1:48
	v_mul_f64 v[6:7], v[174:175], v[4:5]
	v_mul_f64 v[6:7], v[170:171], v[6:7]
	;; [unrolled: 1-line block ×4, first 2 shown]
	s_waitcnt lgkmcnt(0)
	v_accvgpr_write_b32 a239, v9
	v_fmac_f64_e32 v[20:21], v[6:7], v[10:11]
	v_accvgpr_write_b32 a238, v8
	ds_read2_b64 v[6:9], v254 offset0:48 offset1:49
	s_waitcnt lgkmcnt(0)
	v_accvgpr_write_b32 a235, v7
	v_fmac_f64_e32 v[20:21], v[4:5], v[8:9]
	v_accvgpr_write_b32 a234, v6
	ds_read_b64 v[4:5], v126 offset:64
	ds_read_b64 v[6:7], v255 offset:64
	ds_read2_b64 v[130:133], v254 offset0:49 offset1:50
	ds_read2_b64 v[10:13], v254 offset0:50 offset1:51
	s_waitcnt lgkmcnt(2)
	v_mul_f64 v[4:5], v[4:5], v[6:7]
	v_mul_f64 v[6:7], v[18:19], v[4:5]
	;; [unrolled: 1-line block ×5, first 2 shown]
	s_waitcnt lgkmcnt(1)
	v_fmac_f64_e32 v[20:21], v[132:133], v[8:9]
	v_mul_f64 v[8:9], v[190:191], v[6:7]
	v_mul_f64 v[8:9], v[186:187], v[8:9]
	s_waitcnt lgkmcnt(0)
	v_accvgpr_write_b32 a233, v11
	v_fmac_f64_e32 v[20:21], v[12:13], v[8:9]
	v_accvgpr_write_b32 a232, v10
	ds_read2_b64 v[10:13], v254 offset0:51 offset1:52
	v_mul_f64 v[8:9], v[182:183], v[6:7]
	v_mul_f64 v[8:9], v[178:179], v[8:9]
	v_accvgpr_write_b32 a219, v131
	v_accvgpr_write_b32 a218, v130
	s_waitcnt lgkmcnt(0)
	v_accvgpr_write_b32 a231, v11
	v_fmac_f64_e32 v[20:21], v[12:13], v[8:9]
	v_accvgpr_write_b32 a230, v10
	ds_read2_b64 v[10:13], v254 offset0:52 offset1:53
	v_mul_f64 v[8:9], v[174:175], v[6:7]
	v_mul_f64 v[8:9], v[170:171], v[8:9]
	;; [unrolled: 1-line block ×4, first 2 shown]
	s_waitcnt lgkmcnt(0)
	v_accvgpr_write_b32 a227, v11
	v_fmac_f64_e32 v[20:21], v[12:13], v[8:9]
	v_accvgpr_write_b32 a226, v10
	ds_read2_b64 v[8:11], v254 offset0:53 offset1:54
	s_waitcnt lgkmcnt(0)
	v_fmac_f64_e32 v[20:21], v[6:7], v[10:11]
	ds_read2_b64 v[10:13], v254 offset0:54 offset1:55
	v_mul_f64 v[6:7], v[36:37], v[4:5]
	v_accvgpr_write_b32 a223, v9
	v_mul_f64 v[6:7], v[78:79], v[6:7]
	v_accvgpr_write_b32 a222, v8
	v_mul_f64 v[8:9], v[16:17], v[6:7]
	v_mul_f64 v[8:9], v[162:163], v[8:9]
	s_waitcnt lgkmcnt(0)
	v_accvgpr_write_b32 a43, v11
	v_fmac_f64_e32 v[20:21], v[8:9], v[12:13]
	v_accvgpr_write_b32 a42, v10
	ds_read2_b64 v[10:13], v254 offset0:55 offset1:56
	v_mul_f64 v[8:9], v[190:191], v[6:7]
	v_mul_f64 v[8:9], v[186:187], v[8:9]
	s_waitcnt lgkmcnt(0)
	v_accvgpr_write_b32 a217, v11
	v_fmac_f64_e32 v[20:21], v[8:9], v[12:13]
	v_accvgpr_write_b32 a216, v10
	ds_read2_b64 v[10:13], v254 offset0:56 offset1:57
	v_mul_f64 v[8:9], v[182:183], v[6:7]
	v_mul_f64 v[8:9], v[178:179], v[8:9]
	s_waitcnt lgkmcnt(0)
	v_accvgpr_write_b32 a213, v11
	v_fmac_f64_e32 v[20:21], v[8:9], v[12:13]
	v_accvgpr_write_b32 a212, v10
	ds_read2_b64 v[10:13], v254 offset0:57 offset1:58
	v_mul_f64 v[8:9], v[174:175], v[6:7]
	v_mul_f64 v[8:9], v[170:171], v[8:9]
	;; [unrolled: 1-line block ×4, first 2 shown]
	s_waitcnt lgkmcnt(0)
	v_accvgpr_write_b32 a209, v11
	v_fmac_f64_e32 v[20:21], v[8:9], v[12:13]
	v_accvgpr_write_b32 a208, v10
	ds_read2_b64 v[8:11], v254 offset0:58 offset1:59
	s_waitcnt lgkmcnt(0)
	v_fmac_f64_e32 v[20:21], v[6:7], v[10:11]
	ds_read2_b64 v[10:13], v254 offset0:59 offset1:60
	v_mul_f64 v[6:7], v[32:33], v[4:5]
	v_accvgpr_write_b32 a205, v9
	v_mul_f64 v[6:7], v[74:75], v[6:7]
	v_accvgpr_write_b32 a204, v8
	v_mul_f64 v[8:9], v[16:17], v[6:7]
	v_mul_f64 v[8:9], v[162:163], v[8:9]
	s_waitcnt lgkmcnt(0)
	v_accvgpr_write_b32 a39, v11
	v_fmac_f64_e32 v[20:21], v[8:9], v[12:13]
	v_accvgpr_write_b32 a38, v10
	ds_read2_b64 v[10:13], v254 offset0:60 offset1:61
	v_mul_f64 v[8:9], v[190:191], v[6:7]
	v_mul_f64 v[8:9], v[186:187], v[8:9]
	s_waitcnt lgkmcnt(0)
	v_accvgpr_write_b32 a201, v11
	v_fmac_f64_e32 v[20:21], v[8:9], v[12:13]
	v_accvgpr_write_b32 a200, v10
	ds_read2_b64 v[10:13], v254 offset0:61 offset1:62
	v_mul_f64 v[8:9], v[182:183], v[6:7]
	v_mul_f64 v[8:9], v[178:179], v[8:9]
	s_waitcnt lgkmcnt(0)
	v_accvgpr_write_b32 a197, v11
	v_fmac_f64_e32 v[20:21], v[8:9], v[12:13]
	v_accvgpr_write_b32 a196, v10
	ds_read2_b64 v[10:13], v254 offset0:62 offset1:63
	v_mul_f64 v[8:9], v[174:175], v[6:7]
	v_mul_f64 v[8:9], v[170:171], v[8:9]
	;; [unrolled: 1-line block ×4, first 2 shown]
	s_waitcnt lgkmcnt(0)
	v_accvgpr_write_b32 a193, v11
	v_fmac_f64_e32 v[20:21], v[8:9], v[12:13]
	v_accvgpr_write_b32 a192, v10
	ds_read2_b64 v[8:11], v254 offset0:63 offset1:64
	s_waitcnt lgkmcnt(0)
	v_fmac_f64_e32 v[20:21], v[6:7], v[10:11]
	ds_read2_b64 v[10:13], v254 offset0:64 offset1:65
	v_mul_f64 v[6:7], v[28:29], v[4:5]
	v_accvgpr_write_b32 a189, v9
	v_mul_f64 v[6:7], v[70:71], v[6:7]
	v_accvgpr_write_b32 a188, v8
	v_mul_f64 v[8:9], v[16:17], v[6:7]
	v_mul_f64 v[8:9], v[162:163], v[8:9]
	s_waitcnt lgkmcnt(0)
	v_accvgpr_write_b32 a35, v11
	v_fmac_f64_e32 v[20:21], v[8:9], v[12:13]
	v_accvgpr_write_b32 a34, v10
	ds_read2_b64 v[10:13], v254 offset0:65 offset1:66
	v_mul_f64 v[8:9], v[190:191], v[6:7]
	v_mul_f64 v[8:9], v[186:187], v[8:9]
	;; [unrolled: 1-line block ×4, first 2 shown]
	s_waitcnt lgkmcnt(0)
	v_accvgpr_write_b32 a185, v11
	v_fmac_f64_e32 v[20:21], v[8:9], v[12:13]
	v_accvgpr_write_b32 a184, v10
	ds_read2_b64 v[10:13], v254 offset0:66 offset1:67
	v_mul_f64 v[8:9], v[182:183], v[6:7]
	v_mul_f64 v[8:9], v[178:179], v[8:9]
	s_waitcnt lgkmcnt(0)
	v_accvgpr_write_b32 a181, v11
	v_fmac_f64_e32 v[20:21], v[8:9], v[12:13]
	v_accvgpr_write_b32 a180, v10
	ds_read2_b64 v[10:13], v254 offset0:67 offset1:68
	v_mul_f64 v[8:9], v[174:175], v[6:7]
	v_mul_f64 v[8:9], v[170:171], v[8:9]
	;; [unrolled: 1-line block ×4, first 2 shown]
	s_waitcnt lgkmcnt(0)
	v_accvgpr_write_b32 a177, v11
	v_fmac_f64_e32 v[20:21], v[8:9], v[12:13]
	v_accvgpr_write_b32 a176, v10
	ds_read2_b64 v[8:11], v254 offset0:68 offset1:69
	s_waitcnt lgkmcnt(0)
	v_accvgpr_write_b32 a173, v9
	v_fmac_f64_e32 v[20:21], v[6:7], v[10:11]
	v_accvgpr_write_b32 a172, v8
	ds_read2_b64 v[8:11], v254 offset0:69 offset1:70
	v_mul_f64 v[6:7], v[16:17], v[4:5]
	v_mul_f64 v[6:7], v[162:163], v[6:7]
	s_waitcnt lgkmcnt(0)
	v_accvgpr_write_b32 a31, v9
	v_fmac_f64_e32 v[20:21], v[6:7], v[10:11]
	v_accvgpr_write_b32 a30, v8
	ds_read2_b64 v[8:11], v254 offset0:70 offset1:71
	v_mul_f64 v[6:7], v[190:191], v[4:5]
	v_mul_f64 v[6:7], v[186:187], v[6:7]
	s_waitcnt lgkmcnt(0)
	v_accvgpr_write_b32 a169, v9
	v_fmac_f64_e32 v[20:21], v[6:7], v[10:11]
	v_accvgpr_write_b32 a168, v8
	ds_read2_b64 v[8:11], v254 offset0:71 offset1:72
	v_mul_f64 v[6:7], v[182:183], v[4:5]
	v_mul_f64 v[6:7], v[178:179], v[6:7]
	s_waitcnt lgkmcnt(0)
	v_accvgpr_write_b32 a165, v9
	v_fmac_f64_e32 v[20:21], v[6:7], v[10:11]
	v_accvgpr_write_b32 a164, v8
	ds_read2_b64 v[8:11], v254 offset0:72 offset1:73
	v_mul_f64 v[6:7], v[174:175], v[4:5]
	v_mul_f64 v[6:7], v[170:171], v[6:7]
	v_mul_f64 v[4:5], v[2:3], v[4:5]
	v_mul_f64 v[4:5], v[166:167], v[4:5]
	s_waitcnt lgkmcnt(0)
	v_accvgpr_write_b32 a161, v9
	v_fmac_f64_e32 v[20:21], v[6:7], v[10:11]
	v_accvgpr_write_b32 a160, v8
	ds_read2_b64 v[6:9], v254 offset0:73 offset1:74
	s_waitcnt lgkmcnt(0)
	v_accvgpr_write_b32 a157, v7
	v_fmac_f64_e32 v[20:21], v[4:5], v[8:9]
	v_accvgpr_write_b32 a156, v6
	ds_read_b64 v[4:5], v126 offset:96
	ds_read_b64 v[6:7], v255 offset:96
	ds_read2_b64 v[10:13], v254 offset0:74 offset1:75
	s_waitcnt lgkmcnt(1)
	v_mul_f64 v[4:5], v[4:5], v[6:7]
	v_mul_f64 v[6:7], v[18:19], v[4:5]
	;; [unrolled: 1-line block ×5, first 2 shown]
	s_waitcnt lgkmcnt(0)
	v_accvgpr_write_b32 a137, v11
	v_fmac_f64_e32 v[20:21], v[12:13], v[8:9]
	v_accvgpr_write_b32 a136, v10
	ds_read2_b64 v[10:13], v254 offset0:75 offset1:76
	v_mul_f64 v[8:9], v[190:191], v[6:7]
	v_mul_f64 v[8:9], v[186:187], v[8:9]
	s_waitcnt lgkmcnt(0)
	v_accvgpr_write_b32 a153, v11
	v_fmac_f64_e32 v[20:21], v[12:13], v[8:9]
	v_accvgpr_write_b32 a152, v10
	ds_read2_b64 v[10:13], v254 offset0:76 offset1:77
	v_mul_f64 v[8:9], v[182:183], v[6:7]
	v_mul_f64 v[8:9], v[178:179], v[8:9]
	;; [unrolled: 7-line block ×3, first 2 shown]
	v_mul_f64 v[6:7], v[2:3], v[6:7]
	v_mul_f64 v[6:7], v[166:167], v[6:7]
	s_waitcnt lgkmcnt(0)
	v_accvgpr_write_b32 a145, v11
	v_fmac_f64_e32 v[20:21], v[12:13], v[8:9]
	v_accvgpr_write_b32 a144, v10
	ds_read2_b64 v[8:11], v254 offset0:78 offset1:79
	s_waitcnt lgkmcnt(0)
	v_fmac_f64_e32 v[20:21], v[6:7], v[10:11]
	v_mul_f64 v[6:7], v[36:37], v[4:5]
	buffer_store_dword v34, off, s[20:23], 0 offset:1528 ; 4-byte Folded Spill
	s_nop 0
	buffer_store_dword v35, off, s[20:23], 0 offset:1532 ; 4-byte Folded Spill
	buffer_store_dword v36, off, s[20:23], 0 offset:1536 ; 4-byte Folded Spill
	;; [unrolled: 1-line block ×3, first 2 shown]
	ds_read2_b64 v[10:13], v254 offset0:79 offset1:80
	v_accvgpr_write_b32 a141, v9
	v_mul_f64 v[6:7], v[78:79], v[6:7]
	v_accvgpr_write_b32 a140, v8
	v_mul_f64 v[8:9], v[16:17], v[6:7]
	v_mul_f64 v[8:9], v[162:163], v[8:9]
	s_waitcnt lgkmcnt(0)
	v_accvgpr_write_b32 a27, v11
	v_fmac_f64_e32 v[20:21], v[8:9], v[12:13]
	v_accvgpr_write_b32 a26, v10
	ds_read2_b64 v[10:13], v254 offset0:80 offset1:81
	v_mul_f64 v[8:9], v[190:191], v[6:7]
	v_mul_f64 v[8:9], v[186:187], v[8:9]
	s_waitcnt lgkmcnt(0)
	v_accvgpr_write_b32 a133, v11
	v_fmac_f64_e32 v[20:21], v[8:9], v[12:13]
	v_accvgpr_write_b32 a132, v10
	ds_read2_b64 v[10:13], v254 offset0:81 offset1:82
	;; [unrolled: 7-line block ×3, first 2 shown]
	v_mul_f64 v[8:9], v[174:175], v[6:7]
	v_mul_f64 v[8:9], v[170:171], v[8:9]
	;; [unrolled: 1-line block ×4, first 2 shown]
	s_waitcnt lgkmcnt(0)
	v_accvgpr_write_b32 a125, v11
	v_fmac_f64_e32 v[20:21], v[8:9], v[12:13]
	v_accvgpr_write_b32 a124, v10
	ds_read2_b64 v[8:11], v254 offset0:83 offset1:84
	s_waitcnt lgkmcnt(0)
	v_fmac_f64_e32 v[20:21], v[6:7], v[10:11]
	ds_read2_b64 v[10:13], v254 offset0:84 offset1:85
	v_mul_f64 v[6:7], v[32:33], v[4:5]
	v_accvgpr_write_b32 a121, v9
	v_mul_f64 v[6:7], v[74:75], v[6:7]
	v_accvgpr_write_b32 a120, v8
	v_mul_f64 v[8:9], v[16:17], v[6:7]
	v_mul_f64 v[8:9], v[162:163], v[8:9]
	s_waitcnt lgkmcnt(0)
	v_accvgpr_write_b32 a23, v11
	v_fmac_f64_e32 v[20:21], v[8:9], v[12:13]
	v_accvgpr_write_b32 a22, v10
	ds_read2_b64 v[10:13], v254 offset0:85 offset1:86
	v_mul_f64 v[8:9], v[190:191], v[6:7]
	v_mul_f64 v[8:9], v[186:187], v[8:9]
	s_waitcnt lgkmcnt(0)
	v_accvgpr_write_b32 a117, v11
	v_fmac_f64_e32 v[20:21], v[8:9], v[12:13]
	v_accvgpr_write_b32 a116, v10
	ds_read2_b64 v[10:13], v254 offset0:86 offset1:87
	;; [unrolled: 7-line block ×3, first 2 shown]
	v_mul_f64 v[8:9], v[174:175], v[6:7]
	v_mul_f64 v[8:9], v[170:171], v[8:9]
	v_mul_f64 v[6:7], v[2:3], v[6:7]
	v_mul_f64 v[6:7], v[166:167], v[6:7]
	s_waitcnt lgkmcnt(0)
	v_accvgpr_write_b32 a109, v11
	v_fmac_f64_e32 v[20:21], v[8:9], v[12:13]
	v_accvgpr_write_b32 a108, v10
	ds_read2_b64 v[8:11], v254 offset0:88 offset1:89
	s_waitcnt lgkmcnt(0)
	v_fmac_f64_e32 v[20:21], v[6:7], v[10:11]
	v_mul_f64 v[6:7], v[28:29], v[4:5]
	buffer_store_dword v26, off, s[20:23], 0 offset:1512 ; 4-byte Folded Spill
	s_nop 0
	buffer_store_dword v27, off, s[20:23], 0 offset:1516 ; 4-byte Folded Spill
	buffer_store_dword v28, off, s[20:23], 0 offset:1520 ; 4-byte Folded Spill
	;; [unrolled: 1-line block ×3, first 2 shown]
	ds_read2_b64 v[10:13], v254 offset0:89 offset1:90
	v_accvgpr_write_b32 a105, v9
	v_mul_f64 v[6:7], v[70:71], v[6:7]
	v_accvgpr_write_b32 a104, v8
	v_mul_f64 v[8:9], v[16:17], v[6:7]
	v_mul_f64 v[8:9], v[162:163], v[8:9]
	s_waitcnt lgkmcnt(0)
	v_accvgpr_write_b32 a19, v11
	v_fmac_f64_e32 v[20:21], v[8:9], v[12:13]
	v_accvgpr_write_b32 a18, v10
	ds_read2_b64 v[10:13], v254 offset0:90 offset1:91
	v_mul_f64 v[8:9], v[190:191], v[6:7]
	v_mul_f64 v[8:9], v[186:187], v[8:9]
	;; [unrolled: 1-line block ×4, first 2 shown]
	s_waitcnt lgkmcnt(0)
	v_accvgpr_write_b32 a101, v11
	v_fmac_f64_e32 v[20:21], v[8:9], v[12:13]
	v_accvgpr_write_b32 a100, v10
	ds_read2_b64 v[10:13], v254 offset0:91 offset1:92
	v_mul_f64 v[8:9], v[182:183], v[6:7]
	v_mul_f64 v[8:9], v[178:179], v[8:9]
	s_waitcnt lgkmcnt(0)
	v_accvgpr_write_b32 a97, v11
	v_fmac_f64_e32 v[20:21], v[8:9], v[12:13]
	v_accvgpr_write_b32 a96, v10
	ds_read2_b64 v[10:13], v254 offset0:92 offset1:93
	v_mul_f64 v[8:9], v[174:175], v[6:7]
	v_mul_f64 v[8:9], v[170:171], v[8:9]
	;; [unrolled: 1-line block ×4, first 2 shown]
	s_waitcnt lgkmcnt(0)
	v_accvgpr_write_b32 a93, v11
	v_fmac_f64_e32 v[20:21], v[8:9], v[12:13]
	v_accvgpr_write_b32 a92, v10
	ds_read2_b64 v[8:11], v254 offset0:93 offset1:94
	buffer_store_dword v22, off, s[20:23], 0 offset:1688 ; 4-byte Folded Spill
	s_nop 0
	buffer_store_dword v23, off, s[20:23], 0 offset:1692 ; 4-byte Folded Spill
	buffer_store_dword v24, off, s[20:23], 0 offset:1696 ; 4-byte Folded Spill
	;; [unrolled: 1-line block ×3, first 2 shown]
	s_waitcnt lgkmcnt(0)
	v_accvgpr_write_b32 a89, v9
	v_fmac_f64_e32 v[20:21], v[6:7], v[10:11]
	v_accvgpr_write_b32 a88, v8
	ds_read2_b64 v[8:11], v254 offset0:94 offset1:95
	v_mul_f64 v[6:7], v[16:17], v[4:5]
	v_mul_f64 v[6:7], v[162:163], v[6:7]
	s_waitcnt lgkmcnt(0)
	v_accvgpr_write_b32 a15, v9
	v_fmac_f64_e32 v[20:21], v[6:7], v[10:11]
	v_accvgpr_write_b32 a14, v8
	ds_read2_b64 v[8:11], v254 offset0:95 offset1:96
	v_mul_f64 v[6:7], v[190:191], v[4:5]
	v_mul_f64 v[6:7], v[186:187], v[6:7]
	s_waitcnt lgkmcnt(0)
	v_accvgpr_write_b32 a85, v9
	v_fmac_f64_e32 v[20:21], v[6:7], v[10:11]
	v_accvgpr_write_b32 a84, v8
	ds_read2_b64 v[8:11], v254 offset0:96 offset1:97
	v_mul_f64 v[6:7], v[182:183], v[4:5]
	v_mul_f64 v[6:7], v[178:179], v[6:7]
	s_waitcnt lgkmcnt(0)
	v_accvgpr_write_b32 a81, v9
	v_fmac_f64_e32 v[20:21], v[6:7], v[10:11]
	v_accvgpr_write_b32 a80, v8
	ds_read2_b64 v[8:11], v254 offset0:97 offset1:98
	v_mul_f64 v[6:7], v[174:175], v[4:5]
	v_mul_f64 v[6:7], v[170:171], v[6:7]
	v_mul_f64 v[4:5], v[2:3], v[4:5]
	v_mul_f64 v[4:5], v[166:167], v[4:5]
	s_waitcnt lgkmcnt(0)
	v_accvgpr_write_b32 a77, v9
	v_fmac_f64_e32 v[20:21], v[6:7], v[10:11]
	v_accvgpr_write_b32 a76, v8
	ds_read2_b64 v[6:9], v254 offset0:98 offset1:99
	s_waitcnt lgkmcnt(0)
	v_accvgpr_write_b32 a73, v7
	v_fmac_f64_e32 v[20:21], v[4:5], v[8:9]
	v_accvgpr_write_b32 a72, v6
	ds_read_b64 v[4:5], v126 offset:128
	ds_read_b64 v[6:7], v255 offset:128
	ds_read2_b64 v[10:13], v254 offset0:99 offset1:100
	s_waitcnt lgkmcnt(1)
	v_mul_f64 v[4:5], v[4:5], v[6:7]
	v_mul_f64 v[6:7], v[18:19], v[4:5]
	;; [unrolled: 1-line block ×5, first 2 shown]
	s_waitcnt lgkmcnt(0)
	v_accvgpr_write_b32 a53, v11
	v_fmac_f64_e32 v[20:21], v[12:13], v[8:9]
	v_accvgpr_write_b32 a52, v10
	ds_read2_b64 v[10:13], v254 offset0:100 offset1:101
	v_mul_f64 v[8:9], v[190:191], v[6:7]
	v_mul_f64 v[8:9], v[186:187], v[8:9]
	s_waitcnt lgkmcnt(0)
	v_accvgpr_write_b32 a69, v11
	v_fmac_f64_e32 v[20:21], v[12:13], v[8:9]
	v_accvgpr_write_b32 a68, v10
	ds_read2_b64 v[10:13], v254 offset0:101 offset1:102
	v_mul_f64 v[8:9], v[182:183], v[6:7]
	v_mul_f64 v[8:9], v[178:179], v[8:9]
	s_waitcnt lgkmcnt(0)
	v_accvgpr_write_b32 a65, v11
	v_fmac_f64_e32 v[20:21], v[12:13], v[8:9]
	v_accvgpr_write_b32 a64, v10
	ds_read2_b64 v[10:13], v254 offset0:102 offset1:103
	v_mul_f64 v[8:9], v[174:175], v[6:7]
	v_mul_f64 v[8:9], v[170:171], v[8:9]
	v_mul_f64 v[6:7], v[2:3], v[6:7]
	v_mul_f64 v[6:7], v[166:167], v[6:7]
	s_waitcnt lgkmcnt(0)
	v_accvgpr_write_b32 a61, v11
	v_fmac_f64_e32 v[20:21], v[12:13], v[8:9]
	v_accvgpr_write_b32 a60, v10
	ds_read2_b64 v[8:11], v254 offset0:103 offset1:104
	s_waitcnt lgkmcnt(0)
	v_fmac_f64_e32 v[20:21], v[6:7], v[10:11]
	ds_read2_b64 v[10:13], v254 offset0:104 offset1:105
	v_mul_f64 v[6:7], v[36:37], v[4:5]
	v_accvgpr_write_b32 a57, v9
	v_mul_f64 v[6:7], v[78:79], v[6:7]
	v_accvgpr_write_b32 a56, v8
	v_mul_f64 v[8:9], v[16:17], v[6:7]
	v_mul_f64 v[8:9], v[162:163], v[8:9]
	s_waitcnt lgkmcnt(0)
	v_accvgpr_write_b32 a10, v10
	v_fmac_f64_e32 v[20:21], v[8:9], v[12:13]
	v_accvgpr_write_b32 a11, v11
	ds_read2_b64 v[10:13], v254 offset0:105 offset1:106
	v_mul_f64 v[8:9], v[190:191], v[6:7]
	v_mul_f64 v[8:9], v[186:187], v[8:9]
	s_waitcnt lgkmcnt(0)
	v_accvgpr_write_b32 a49, v11
	v_fmac_f64_e32 v[20:21], v[8:9], v[12:13]
	v_accvgpr_write_b32 a48, v10
	ds_read2_b64 v[10:13], v254 offset0:106 offset1:107
	v_mul_f64 v[8:9], v[182:183], v[6:7]
	v_mul_f64 v[8:9], v[178:179], v[8:9]
	s_waitcnt lgkmcnt(0)
	v_accvgpr_write_b32 a45, v11
	v_fmac_f64_e32 v[20:21], v[8:9], v[12:13]
	v_accvgpr_write_b32 a44, v10
	ds_read2_b64 v[10:13], v254 offset0:107 offset1:108
	v_mul_f64 v[8:9], v[174:175], v[6:7]
	v_mul_f64 v[8:9], v[170:171], v[8:9]
	v_mul_f64 v[6:7], v[2:3], v[6:7]
	v_mul_f64 v[6:7], v[166:167], v[6:7]
	s_waitcnt lgkmcnt(0)
	v_accvgpr_write_b32 a41, v11
	v_fmac_f64_e32 v[20:21], v[8:9], v[12:13]
	v_accvgpr_write_b32 a40, v10
	ds_read2_b64 v[8:11], v254 offset0:108 offset1:109
	s_waitcnt lgkmcnt(0)
	v_fmac_f64_e32 v[20:21], v[6:7], v[10:11]
	ds_read2_b64 v[10:13], v254 offset0:109 offset1:110
	v_mul_f64 v[6:7], v[32:33], v[4:5]
	v_accvgpr_write_b32 a37, v9
	v_mul_f64 v[6:7], v[74:75], v[6:7]
	v_accvgpr_write_b32 a36, v8
	v_mul_f64 v[8:9], v[16:17], v[6:7]
	v_mul_f64 v[8:9], v[162:163], v[8:9]
	;; [unrolled: 37-line block ×3, first 2 shown]
	s_waitcnt lgkmcnt(0)
	v_accvgpr_write_b32 a2, v10
	v_fmac_f64_e32 v[20:21], v[8:9], v[12:13]
	v_accvgpr_write_b32 a3, v11
	ds_read2_b64 v[10:13], v254 offset0:115 offset1:116
	v_mul_f64 v[8:9], v[190:191], v[6:7]
	v_mul_f64 v[8:9], v[186:187], v[8:9]
	;; [unrolled: 1-line block ×4, first 2 shown]
	s_waitcnt lgkmcnt(0)
	v_accvgpr_write_b32 a17, v11
	v_fmac_f64_e32 v[20:21], v[8:9], v[12:13]
	v_accvgpr_write_b32 a16, v10
	ds_read2_b64 v[10:13], v254 offset0:116 offset1:117
	v_mul_f64 v[8:9], v[182:183], v[6:7]
	v_mul_f64 v[8:9], v[178:179], v[8:9]
	s_waitcnt lgkmcnt(0)
	v_accvgpr_write_b32 a13, v11
	v_fmac_f64_e32 v[20:21], v[8:9], v[12:13]
	v_accvgpr_write_b32 a12, v10
	ds_read2_b64 v[10:13], v254 offset0:117 offset1:118
	v_mul_f64 v[8:9], v[174:175], v[6:7]
	v_mul_f64 v[8:9], v[170:171], v[8:9]
	v_mul_f64 v[6:7], v[2:3], v[6:7]
	v_mul_f64 v[6:7], v[166:167], v[6:7]
	s_waitcnt lgkmcnt(0)
	v_accvgpr_write_b32 a8, v10
	v_fmac_f64_e32 v[20:21], v[8:9], v[12:13]
	v_accvgpr_write_b32 a9, v11
	ds_read2_b64 v[8:11], v254 offset0:118 offset1:119
	v_mul_f64 v[2:3], v[2:3], v[4:5]
	v_mul_f64 v[2:3], v[166:167], v[2:3]
	s_waitcnt lgkmcnt(0)
	v_accvgpr_write_b32 a4, v8
	v_fmac_f64_e32 v[20:21], v[6:7], v[10:11]
	v_accvgpr_write_b32 a5, v9
	ds_read2_b64 v[8:11], v254 offset0:119 offset1:120
	v_mul_f64 v[6:7], v[16:17], v[4:5]
	v_mul_f64 v[6:7], v[162:163], v[6:7]
	s_waitcnt lgkmcnt(0)
	v_accvgpr_write_b32 a0, v8
	v_fmac_f64_e32 v[20:21], v[6:7], v[10:11]
	v_accvgpr_write_b32 a1, v9
	ds_read2_b64 v[8:11], v254 offset0:120 offset1:121
	v_mul_f64 v[6:7], v[190:191], v[4:5]
	v_mul_f64 v[6:7], v[186:187], v[6:7]
	s_waitcnt lgkmcnt(0)
	v_fmac_f64_e32 v[20:21], v[6:7], v[10:11]
	v_pk_mov_b32 v[186:187], v[8:9], v[8:9] op_sel:[0,1]
	ds_read2_b64 v[8:11], v254 offset0:121 offset1:122
	v_mul_f64 v[6:7], v[182:183], v[4:5]
	v_mul_f64 v[6:7], v[178:179], v[6:7]
	s_waitcnt lgkmcnt(0)
	v_fmac_f64_e32 v[20:21], v[6:7], v[10:11]
	v_pk_mov_b32 v[178:179], v[8:9], v[8:9] op_sel:[0,1]
	ds_read2_b64 v[8:11], v254 offset0:122 offset1:123
	v_mul_f64 v[6:7], v[174:175], v[4:5]
	v_mul_f64 v[6:7], v[170:171], v[6:7]
	s_waitcnt lgkmcnt(0)
	v_fmac_f64_e32 v[20:21], v[6:7], v[10:11]
	ds_read2_b64 v[4:7], v254 offset0:123 offset1:124
	v_pk_mov_b32 v[170:171], v[8:9], v[8:9] op_sel:[0,1]
	s_waitcnt lgkmcnt(0)
	v_fmac_f64_e32 v[20:21], v[2:3], v[6:7]
	global_store_dwordx2 v[128:129], v[20:21], off offset:2048
	v_pk_mov_b32 v[174:175], v[4:5], v[4:5] op_sel:[0,1]
	ds_read_b64 v[116:117], v125
	ds_read2_b64 v[210:213], v254 offset0:126 offset1:127
	ds_read_b64 v[112:113], v125 offset:32
	ds_read_b64 v[114:115], v254 offset:1048
	;; [unrolled: 1-line block ×8, first 2 shown]
	ds_read_b64 v[166:167], v124
	ds_read_b64 v[162:163], v124 offset:32
	ds_read_b64 v[122:123], v124 offset:64
	;; [unrolled: 1-line block ×4, first 2 shown]
	ds_read_b64 v[2:3], v126
	ds_read_b64 v[4:5], v126 offset:32
	ds_read_b64 v[6:7], v255
	ds_read_b64 v[8:9], v255 offset:32
	ds_read_b64 v[12:13], v254
	ds_read2_b64 v[38:41], v254 offset1:1
	ds_read2_b64 v[34:37], v254 offset0:1 offset1:2
	ds_read2_b64 v[30:33], v254 offset0:2 offset1:3
	;; [unrolled: 1-line block ×8, first 2 shown]
	s_waitcnt lgkmcnt(11)
	v_mul_f64 v[2:3], v[2:3], v[6:7]
	v_mul_f64 v[6:7], v[166:167], v[2:3]
	;; [unrolled: 1-line block ×5, first 2 shown]
	s_waitcnt lgkmcnt(9)
	v_fma_f64 v[96:97], v[12:13], v[10:11], 0
	v_mul_f64 v[10:11], v[112:113], v[6:7]
	v_mul_f64 v[10:11], v[114:115], v[10:11]
	s_waitcnt lgkmcnt(8)
	v_fmac_f64_e32 v[96:97], v[40:41], v[10:11]
	v_mul_f64 v[10:11], v[104:105], v[6:7]
	v_mul_f64 v[10:11], v[106:107], v[10:11]
	s_waitcnt lgkmcnt(7)
	v_fmac_f64_e32 v[96:97], v[36:37], v[10:11]
	v_mul_f64 v[10:11], v[74:75], v[6:7]
	v_mul_f64 v[10:11], v[78:79], v[10:11]
	;; [unrolled: 1-line block ×3, first 2 shown]
	s_waitcnt lgkmcnt(6)
	v_fmac_f64_e32 v[96:97], v[32:33], v[10:11]
	v_mul_f64 v[6:7], v[70:71], v[6:7]
	s_waitcnt lgkmcnt(5)
	v_fmac_f64_e32 v[96:97], v[6:7], v[28:29]
	v_mul_f64 v[6:7], v[162:163], v[2:3]
	v_mul_f64 v[6:7], v[114:115], v[6:7]
	;; [unrolled: 1-line block ×4, first 2 shown]
	s_waitcnt lgkmcnt(4)
	v_fmac_f64_e32 v[96:97], v[10:11], v[24:25]
	v_mul_f64 v[10:11], v[112:113], v[6:7]
	v_mul_f64 v[10:11], v[114:115], v[10:11]
	s_waitcnt lgkmcnt(2)
	v_pk_mov_b32 v[182:183], v[14:15], v[14:15] op_sel:[0,1]
	ds_read2_b64 v[12:15], v254 offset0:7 offset1:8
	v_fmac_f64_e32 v[96:97], v[10:11], v[20:21]
	v_mul_f64 v[10:11], v[104:105], v[6:7]
	v_mul_f64 v[10:11], v[106:107], v[10:11]
	v_fmac_f64_e32 v[96:97], v[10:11], v[16:17]
	v_mul_f64 v[10:11], v[74:75], v[6:7]
	v_mul_f64 v[10:11], v[78:79], v[10:11]
	;; [unrolled: 1-line block ×3, first 2 shown]
	s_waitcnt lgkmcnt(0)
	v_fmac_f64_e32 v[96:97], v[10:11], v[14:15]
	v_pk_mov_b32 v[136:137], v[12:13], v[12:13] op_sel:[0,1]
	v_mul_f64 v[6:7], v[70:71], v[6:7]
	ds_read2_b64 v[12:15], v254 offset0:9 offset1:10
	v_fmac_f64_e32 v[96:97], v[6:7], v[196:197]
	v_mul_f64 v[6:7], v[122:123], v[2:3]
	v_mul_f64 v[6:7], v[106:107], v[6:7]
	;; [unrolled: 1-line block ×4, first 2 shown]
	s_waitcnt lgkmcnt(0)
	v_fmac_f64_e32 v[96:97], v[10:11], v[14:15]
	v_pk_mov_b32 v[132:133], v[12:13], v[12:13] op_sel:[0,1]
	ds_read2_b64 v[12:15], v254 offset0:11 offset1:12
	v_mul_f64 v[10:11], v[112:113], v[6:7]
	v_mul_f64 v[10:11], v[114:115], v[10:11]
	v_fmac_f64_e32 v[96:97], v[10:11], v[110:111]
	v_mul_f64 v[10:11], v[104:105], v[6:7]
	v_mul_f64 v[10:11], v[106:107], v[10:11]
	s_waitcnt lgkmcnt(0)
	v_fmac_f64_e32 v[96:97], v[10:11], v[14:15]
	v_pk_mov_b32 v[138:139], v[12:13], v[12:13] op_sel:[0,1]
	ds_read2_b64 v[12:15], v254 offset0:12 offset1:13
	v_mul_f64 v[10:11], v[74:75], v[6:7]
	v_mul_f64 v[10:11], v[78:79], v[10:11]
	;; [unrolled: 1-line block ×4, first 2 shown]
	s_waitcnt lgkmcnt(0)
	v_fmac_f64_e32 v[96:97], v[10:11], v[14:15]
	v_pk_mov_b32 v[134:135], v[12:13], v[12:13] op_sel:[0,1]
	ds_read2_b64 v[10:13], v254 offset0:13 offset1:14
	ds_read2_b64 v[216:219], v254 offset0:14 offset1:15
	;; [unrolled: 1-line block ×5, first 2 shown]
	s_waitcnt lgkmcnt(4)
	v_fmac_f64_e32 v[96:97], v[6:7], v[12:13]
	v_mul_f64 v[6:7], v[120:121], v[2:3]
	v_mul_f64 v[6:7], v[78:79], v[6:7]
	v_pk_mov_b32 v[130:131], v[10:11], v[10:11] op_sel:[0,1]
	v_mul_f64 v[10:11], v[116:117], v[6:7]
	v_mul_f64 v[10:11], v[212:213], v[10:11]
	s_waitcnt lgkmcnt(3)
	v_fmac_f64_e32 v[96:97], v[10:11], v[218:219]
	v_mul_f64 v[10:11], v[112:113], v[6:7]
	v_mul_f64 v[10:11], v[114:115], v[10:11]
	s_waitcnt lgkmcnt(2)
	v_fmac_f64_e32 v[96:97], v[10:11], v[60:61]
	v_mul_f64 v[10:11], v[104:105], v[6:7]
	ds_read2_b64 v[82:85], v254 offset0:18 offset1:19
	ds_read2_b64 v[54:57], v254 offset0:20 offset1:21
	v_mul_f64 v[10:11], v[106:107], v[10:11]
	s_waitcnt lgkmcnt(3)
	v_fmac_f64_e32 v[96:97], v[10:11], v[92:93]
	v_mul_f64 v[10:11], v[74:75], v[6:7]
	ds_read2_b64 v[218:221], v254 offset0:19 offset1:20
	v_mul_f64 v[10:11], v[78:79], v[10:11]
	v_mul_f64 v[6:7], v[66:67], v[6:7]
	;; [unrolled: 1-line block ×3, first 2 shown]
	s_waitcnt lgkmcnt(3)
	v_fmac_f64_e32 v[96:97], v[10:11], v[88:89]
	v_mul_f64 v[6:7], v[70:71], v[6:7]
	v_mul_f64 v[2:3], v[70:71], v[2:3]
	s_waitcnt lgkmcnt(2)
	v_fmac_f64_e32 v[96:97], v[6:7], v[84:85]
	v_mul_f64 v[6:7], v[116:117], v[2:3]
	v_mul_f64 v[6:7], v[212:213], v[6:7]
	ds_read2_b64 v[50:53], v254 offset0:21 offset1:22
	ds_read2_b64 v[46:49], v254 offset0:22 offset1:23
	s_waitcnt lgkmcnt(2)
	v_fmac_f64_e32 v[96:97], v[6:7], v[220:221]
	v_mul_f64 v[6:7], v[112:113], v[2:3]
	v_mul_f64 v[6:7], v[114:115], v[6:7]
	v_fmac_f64_e32 v[96:97], v[6:7], v[56:57]
	v_mul_f64 v[6:7], v[104:105], v[2:3]
	ds_read2_b64 v[42:45], v254 offset0:23 offset1:24
	ds_read2_b64 v[250:253], v254 offset0:29 offset1:30
	v_mul_f64 v[6:7], v[106:107], v[6:7]
	s_waitcnt lgkmcnt(3)
	v_fmac_f64_e32 v[96:97], v[6:7], v[52:53]
	v_mul_f64 v[6:7], v[74:75], v[2:3]
	v_mul_f64 v[6:7], v[78:79], v[6:7]
	;; [unrolled: 1-line block ×3, first 2 shown]
	s_waitcnt lgkmcnt(2)
	v_fmac_f64_e32 v[96:97], v[6:7], v[48:49]
	v_mul_f64 v[2:3], v[70:71], v[2:3]
	v_mul_f64 v[6:7], v[4:5], v[8:9]
	ds_read2_b64 v[60:63], v254 offset0:24 offset1:25
	s_waitcnt lgkmcnt(2)
	v_fmac_f64_e32 v[96:97], v[2:3], v[44:45]
	v_mul_f64 v[2:3], v[166:167], v[6:7]
	v_pk_mov_b32 v[152:153], v[38:39], v[38:39] op_sel:[0,1]
	v_mul_f64 v[8:9], v[212:213], v[2:3]
	ds_read2_b64 v[38:41], v254 offset0:25 offset1:26
	v_mul_f64 v[2:3], v[116:117], v[8:9]
	v_pk_mov_b32 v[150:151], v[34:35], v[34:35] op_sel:[0,1]
	v_mul_f64 v[2:3], v[212:213], v[2:3]
	ds_read2_b64 v[34:37], v254 offset0:26 offset1:27
	s_waitcnt lgkmcnt(2)
	v_fmac_f64_e32 v[96:97], v[62:63], v[2:3]
	v_mul_f64 v[2:3], v[112:113], v[8:9]
	v_mul_f64 v[2:3], v[114:115], v[2:3]
	s_waitcnt lgkmcnt(1)
	v_fmac_f64_e32 v[96:97], v[40:41], v[2:3]
	v_mul_f64 v[2:3], v[104:105], v[8:9]
	v_mul_f64 v[2:3], v[106:107], v[2:3]
	s_waitcnt lgkmcnt(0)
	v_fmac_f64_e32 v[96:97], v[36:37], v[2:3]
	v_mul_f64 v[2:3], v[74:75], v[8:9]
	v_mul_f64 v[10:11], v[78:79], v[2:3]
	ds_read2_b64 v[2:5], v254 offset0:27 offset1:28
	v_pk_mov_b32 v[146:147], v[26:27], v[26:27] op_sel:[0,1]
	ds_read2_b64 v[24:27], v254 offset0:28 offset1:29
	v_pk_mov_b32 v[142:143], v[22:23], v[22:23] op_sel:[0,1]
	ds_read2_b64 v[20:23], v254 offset0:30 offset1:31
	s_waitcnt lgkmcnt(2)
	v_fmac_f64_e32 v[96:97], v[4:5], v[10:11]
	v_mul_f64 v[4:5], v[66:67], v[8:9]
	v_mul_f64 v[4:5], v[70:71], v[4:5]
	s_waitcnt lgkmcnt(1)
	v_fmac_f64_e32 v[96:97], v[4:5], v[26:27]
	v_mul_f64 v[4:5], v[162:163], v[6:7]
	v_mul_f64 v[4:5], v[114:115], v[4:5]
	;; [unrolled: 1-line block ×3, first 2 shown]
	v_pk_mov_b32 v[144:145], v[18:19], v[18:19] op_sel:[0,1]
	v_mul_f64 v[8:9], v[212:213], v[8:9]
	ds_read2_b64 v[16:19], v254 offset0:31 offset1:32
	v_fmac_f64_e32 v[96:97], v[8:9], v[252:253]
	v_mul_f64 v[8:9], v[112:113], v[4:5]
	v_mul_f64 v[8:9], v[114:115], v[8:9]
	ds_read_b64 v[10:11], v254 offset:264
	s_waitcnt lgkmcnt(2)
	v_fmac_f64_e32 v[96:97], v[8:9], v[22:23]
	v_mul_f64 v[8:9], v[104:105], v[4:5]
	v_mul_f64 v[8:9], v[106:107], v[8:9]
	s_waitcnt lgkmcnt(1)
	v_fmac_f64_e32 v[96:97], v[8:9], v[18:19]
	v_mul_f64 v[8:9], v[74:75], v[4:5]
	v_mul_f64 v[8:9], v[78:79], v[8:9]
	s_waitcnt lgkmcnt(0)
	v_fmac_f64_e32 v[96:97], v[8:9], v[10:11]
	ds_read_b64 v[8:9], v254 offset:272
	ds_read_b64 v[10:11], v254 offset:280
	v_mul_f64 v[4:5], v[66:67], v[4:5]
	v_mul_f64 v[4:5], v[70:71], v[4:5]
	v_pk_mov_b32 v[148:149], v[30:31], v[30:31] op_sel:[0,1]
	s_waitcnt lgkmcnt(1)
	v_fmac_f64_e32 v[96:97], v[4:5], v[8:9]
	v_mul_f64 v[4:5], v[122:123], v[6:7]
	v_mul_f64 v[4:5], v[106:107], v[4:5]
	;; [unrolled: 1-line block ×4, first 2 shown]
	s_waitcnt lgkmcnt(0)
	v_fmac_f64_e32 v[96:97], v[8:9], v[10:11]
	ds_read_b64 v[10:11], v254 offset:288
	v_mul_f64 v[8:9], v[112:113], v[4:5]
	v_mul_f64 v[8:9], v[114:115], v[8:9]
	s_waitcnt lgkmcnt(0)
	v_fmac_f64_e32 v[96:97], v[8:9], v[10:11]
	ds_read_b64 v[10:11], v254 offset:296
	v_mul_f64 v[8:9], v[104:105], v[4:5]
	v_mul_f64 v[8:9], v[106:107], v[8:9]
	;; [unrolled: 5-line block ×3, first 2 shown]
	v_mul_f64 v[4:5], v[66:67], v[4:5]
	v_mul_f64 v[4:5], v[70:71], v[4:5]
	s_waitcnt lgkmcnt(0)
	v_fmac_f64_e32 v[96:97], v[8:9], v[10:11]
	ds_read_b64 v[8:9], v254 offset:312
	ds_read_b64 v[10:11], v254 offset:320
	s_waitcnt lgkmcnt(1)
	v_fmac_f64_e32 v[96:97], v[4:5], v[8:9]
	v_mul_f64 v[4:5], v[120:121], v[6:7]
	v_mul_f64 v[4:5], v[78:79], v[4:5]
	;; [unrolled: 1-line block ×4, first 2 shown]
	s_waitcnt lgkmcnt(0)
	v_fmac_f64_e32 v[96:97], v[8:9], v[10:11]
	ds_read_b64 v[10:11], v254 offset:328
	v_mul_f64 v[8:9], v[112:113], v[4:5]
	v_mul_f64 v[8:9], v[114:115], v[8:9]
	s_waitcnt lgkmcnt(0)
	v_fmac_f64_e32 v[96:97], v[8:9], v[10:11]
	ds_read_b64 v[10:11], v254 offset:336
	v_mul_f64 v[8:9], v[104:105], v[4:5]
	v_mul_f64 v[8:9], v[106:107], v[8:9]
	;; [unrolled: 5-line block ×3, first 2 shown]
	v_mul_f64 v[4:5], v[66:67], v[4:5]
	v_mul_f64 v[4:5], v[70:71], v[4:5]
	s_waitcnt lgkmcnt(0)
	v_fmac_f64_e32 v[96:97], v[8:9], v[10:11]
	ds_read_b64 v[8:9], v254 offset:352
	s_waitcnt lgkmcnt(0)
	v_fmac_f64_e32 v[96:97], v[4:5], v[8:9]
	ds_read_b64 v[8:9], v254 offset:360
	v_mul_f64 v[4:5], v[118:119], v[6:7]
	v_mul_f64 v[4:5], v[70:71], v[4:5]
	;; [unrolled: 1-line block ×4, first 2 shown]
	s_waitcnt lgkmcnt(0)
	v_fmac_f64_e32 v[96:97], v[6:7], v[8:9]
	ds_read_b64 v[8:9], v254 offset:368
	v_mul_f64 v[6:7], v[112:113], v[4:5]
	v_mul_f64 v[6:7], v[114:115], v[6:7]
	s_waitcnt lgkmcnt(0)
	v_fmac_f64_e32 v[96:97], v[6:7], v[8:9]
	ds_read_b64 v[8:9], v254 offset:376
	v_mul_f64 v[6:7], v[104:105], v[4:5]
	v_mul_f64 v[6:7], v[106:107], v[6:7]
	;; [unrolled: 5-line block ×3, first 2 shown]
	v_mul_f64 v[4:5], v[66:67], v[4:5]
	v_mul_f64 v[4:5], v[70:71], v[4:5]
	s_waitcnt lgkmcnt(0)
	v_fmac_f64_e32 v[96:97], v[6:7], v[8:9]
	ds_read_b64 v[6:7], v254 offset:392
	s_waitcnt lgkmcnt(0)
	v_fmac_f64_e32 v[96:97], v[4:5], v[6:7]
	ds_read_b64 v[4:5], v126 offset:64
	ds_read_b64 v[6:7], v255 offset:64
	;; [unrolled: 1-line block ×3, first 2 shown]
	s_waitcnt lgkmcnt(1)
	v_mul_f64 v[4:5], v[4:5], v[6:7]
	v_mul_f64 v[6:7], v[166:167], v[4:5]
	;; [unrolled: 1-line block ×5, first 2 shown]
	s_waitcnt lgkmcnt(0)
	v_fmac_f64_e32 v[96:97], v[10:11], v[8:9]
	ds_read_b64 v[10:11], v254 offset:408
	v_mul_f64 v[8:9], v[112:113], v[6:7]
	v_mul_f64 v[8:9], v[114:115], v[8:9]
	s_waitcnt lgkmcnt(0)
	v_fmac_f64_e32 v[96:97], v[10:11], v[8:9]
	ds_read_b64 v[10:11], v254 offset:416
	v_mul_f64 v[8:9], v[104:105], v[6:7]
	v_mul_f64 v[8:9], v[106:107], v[8:9]
	s_waitcnt lgkmcnt(0)
	v_fmac_f64_e32 v[96:97], v[10:11], v[8:9]
	ds_read_b64 v[10:11], v254 offset:424
	v_mul_f64 v[8:9], v[74:75], v[6:7]
	v_mul_f64 v[8:9], v[78:79], v[8:9]
	v_mul_f64 v[6:7], v[66:67], v[6:7]
	v_mul_f64 v[6:7], v[70:71], v[6:7]
	s_waitcnt lgkmcnt(0)
	v_fmac_f64_e32 v[96:97], v[10:11], v[8:9]
	ds_read_b64 v[8:9], v254 offset:432
	ds_read_b64 v[10:11], v254 offset:440
	s_waitcnt lgkmcnt(1)
	v_fmac_f64_e32 v[96:97], v[6:7], v[8:9]
	v_mul_f64 v[6:7], v[162:163], v[4:5]
	v_mul_f64 v[6:7], v[114:115], v[6:7]
	v_mul_f64 v[8:9], v[116:117], v[6:7]
	v_mul_f64 v[8:9], v[212:213], v[8:9]
	s_waitcnt lgkmcnt(0)
	v_fmac_f64_e32 v[96:97], v[8:9], v[10:11]
	ds_read_b64 v[10:11], v254 offset:448
	v_mul_f64 v[8:9], v[112:113], v[6:7]
	v_mul_f64 v[8:9], v[114:115], v[8:9]
	s_waitcnt lgkmcnt(0)
	v_fmac_f64_e32 v[96:97], v[8:9], v[10:11]
	ds_read_b64 v[10:11], v254 offset:456
	v_mul_f64 v[8:9], v[104:105], v[6:7]
	v_mul_f64 v[8:9], v[106:107], v[8:9]
	s_waitcnt lgkmcnt(0)
	v_fmac_f64_e32 v[96:97], v[8:9], v[10:11]
	ds_read_b64 v[10:11], v254 offset:464
	v_mul_f64 v[8:9], v[74:75], v[6:7]
	v_mul_f64 v[8:9], v[78:79], v[8:9]
	v_mul_f64 v[6:7], v[66:67], v[6:7]
	v_mul_f64 v[6:7], v[70:71], v[6:7]
	s_waitcnt lgkmcnt(0)
	v_fmac_f64_e32 v[96:97], v[8:9], v[10:11]
	ds_read_b64 v[8:9], v254 offset:472
	ds_read_b64 v[10:11], v254 offset:480
	s_waitcnt lgkmcnt(1)
	v_fmac_f64_e32 v[96:97], v[6:7], v[8:9]
	v_mul_f64 v[6:7], v[122:123], v[4:5]
	v_mul_f64 v[6:7], v[106:107], v[6:7]
	v_mul_f64 v[8:9], v[116:117], v[6:7]
	v_mul_f64 v[8:9], v[212:213], v[8:9]
	s_waitcnt lgkmcnt(0)
	v_fmac_f64_e32 v[96:97], v[8:9], v[10:11]
	ds_read_b64 v[10:11], v254 offset:488
	v_mul_f64 v[8:9], v[112:113], v[6:7]
	v_mul_f64 v[8:9], v[114:115], v[8:9]
	s_waitcnt lgkmcnt(0)
	v_fmac_f64_e32 v[96:97], v[8:9], v[10:11]
	ds_read_b64 v[10:11], v254 offset:496
	v_mul_f64 v[8:9], v[104:105], v[6:7]
	v_mul_f64 v[8:9], v[106:107], v[8:9]
	s_waitcnt lgkmcnt(0)
	v_fmac_f64_e32 v[96:97], v[8:9], v[10:11]
	ds_read_b64 v[10:11], v254 offset:504
	v_mul_f64 v[8:9], v[74:75], v[6:7]
	v_mul_f64 v[8:9], v[78:79], v[8:9]
	v_mul_f64 v[6:7], v[66:67], v[6:7]
	v_mul_f64 v[6:7], v[70:71], v[6:7]
	s_waitcnt lgkmcnt(0)
	v_fmac_f64_e32 v[96:97], v[8:9], v[10:11]
	ds_read_b64 v[8:9], v254 offset:512
	ds_read_b64 v[10:11], v254 offset:520
	s_waitcnt lgkmcnt(1)
	v_fmac_f64_e32 v[96:97], v[6:7], v[8:9]
	v_mul_f64 v[6:7], v[120:121], v[4:5]
	v_mul_f64 v[6:7], v[78:79], v[6:7]
	v_mul_f64 v[8:9], v[116:117], v[6:7]
	v_mul_f64 v[8:9], v[212:213], v[8:9]
	s_waitcnt lgkmcnt(0)
	v_fmac_f64_e32 v[96:97], v[8:9], v[10:11]
	ds_read_b64 v[10:11], v254 offset:528
	v_mul_f64 v[8:9], v[112:113], v[6:7]
	v_mul_f64 v[8:9], v[114:115], v[8:9]
	;; [unrolled: 1-line block ×4, first 2 shown]
	s_waitcnt lgkmcnt(0)
	v_fmac_f64_e32 v[96:97], v[8:9], v[10:11]
	ds_read_b64 v[10:11], v254 offset:536
	v_mul_f64 v[8:9], v[104:105], v[6:7]
	v_mul_f64 v[8:9], v[106:107], v[8:9]
	s_waitcnt lgkmcnt(0)
	v_fmac_f64_e32 v[96:97], v[8:9], v[10:11]
	ds_read_b64 v[10:11], v254 offset:544
	v_mul_f64 v[8:9], v[74:75], v[6:7]
	v_mul_f64 v[8:9], v[78:79], v[8:9]
	;; [unrolled: 1-line block ×4, first 2 shown]
	s_waitcnt lgkmcnt(0)
	v_fmac_f64_e32 v[96:97], v[8:9], v[10:11]
	ds_read_b64 v[8:9], v254 offset:552
	s_waitcnt lgkmcnt(0)
	v_fmac_f64_e32 v[96:97], v[6:7], v[8:9]
	ds_read_b64 v[8:9], v254 offset:560
	v_mul_f64 v[6:7], v[116:117], v[4:5]
	v_mul_f64 v[6:7], v[212:213], v[6:7]
	s_waitcnt lgkmcnt(0)
	v_fmac_f64_e32 v[96:97], v[6:7], v[8:9]
	ds_read_b64 v[8:9], v254 offset:568
	v_mul_f64 v[6:7], v[112:113], v[4:5]
	v_mul_f64 v[6:7], v[114:115], v[6:7]
	;; [unrolled: 5-line block ×4, first 2 shown]
	v_mul_f64 v[4:5], v[66:67], v[4:5]
	v_mul_f64 v[4:5], v[70:71], v[4:5]
	s_waitcnt lgkmcnt(0)
	v_fmac_f64_e32 v[96:97], v[6:7], v[8:9]
	ds_read_b64 v[6:7], v254 offset:592
	s_waitcnt lgkmcnt(0)
	v_fmac_f64_e32 v[96:97], v[4:5], v[6:7]
	ds_read_b64 v[4:5], v126 offset:96
	ds_read_b64 v[6:7], v255 offset:96
	;; [unrolled: 1-line block ×3, first 2 shown]
	s_waitcnt lgkmcnt(1)
	v_mul_f64 v[4:5], v[4:5], v[6:7]
	v_mul_f64 v[6:7], v[166:167], v[4:5]
	;; [unrolled: 1-line block ×5, first 2 shown]
	s_waitcnt lgkmcnt(0)
	v_fmac_f64_e32 v[96:97], v[10:11], v[8:9]
	ds_read_b64 v[10:11], v254 offset:608
	v_mul_f64 v[8:9], v[112:113], v[6:7]
	v_mul_f64 v[8:9], v[114:115], v[8:9]
	s_waitcnt lgkmcnt(0)
	v_fmac_f64_e32 v[96:97], v[10:11], v[8:9]
	ds_read_b64 v[10:11], v254 offset:616
	v_mul_f64 v[8:9], v[104:105], v[6:7]
	v_mul_f64 v[8:9], v[106:107], v[8:9]
	s_waitcnt lgkmcnt(0)
	v_fmac_f64_e32 v[96:97], v[10:11], v[8:9]
	ds_read_b64 v[10:11], v254 offset:624
	v_mul_f64 v[8:9], v[74:75], v[6:7]
	v_mul_f64 v[8:9], v[78:79], v[8:9]
	v_mul_f64 v[6:7], v[66:67], v[6:7]
	v_mul_f64 v[6:7], v[70:71], v[6:7]
	s_waitcnt lgkmcnt(0)
	v_fmac_f64_e32 v[96:97], v[10:11], v[8:9]
	ds_read_b64 v[8:9], v254 offset:632
	ds_read_b64 v[10:11], v254 offset:640
	s_waitcnt lgkmcnt(1)
	v_fmac_f64_e32 v[96:97], v[6:7], v[8:9]
	v_mul_f64 v[6:7], v[162:163], v[4:5]
	v_mul_f64 v[6:7], v[114:115], v[6:7]
	v_mul_f64 v[8:9], v[116:117], v[6:7]
	v_mul_f64 v[8:9], v[212:213], v[8:9]
	s_waitcnt lgkmcnt(0)
	v_fmac_f64_e32 v[96:97], v[8:9], v[10:11]
	ds_read_b64 v[10:11], v254 offset:648
	v_mul_f64 v[8:9], v[112:113], v[6:7]
	v_mul_f64 v[8:9], v[114:115], v[8:9]
	s_waitcnt lgkmcnt(0)
	v_fmac_f64_e32 v[96:97], v[8:9], v[10:11]
	ds_read_b64 v[10:11], v254 offset:656
	v_mul_f64 v[8:9], v[104:105], v[6:7]
	v_mul_f64 v[8:9], v[106:107], v[8:9]
	s_waitcnt lgkmcnt(0)
	v_fmac_f64_e32 v[96:97], v[8:9], v[10:11]
	ds_read_b64 v[10:11], v254 offset:664
	v_mul_f64 v[8:9], v[74:75], v[6:7]
	v_mul_f64 v[8:9], v[78:79], v[8:9]
	v_mul_f64 v[6:7], v[66:67], v[6:7]
	v_mul_f64 v[6:7], v[70:71], v[6:7]
	s_waitcnt lgkmcnt(0)
	v_fmac_f64_e32 v[96:97], v[8:9], v[10:11]
	ds_read_b64 v[8:9], v254 offset:672
	ds_read_b64 v[10:11], v254 offset:680
	s_waitcnt lgkmcnt(1)
	v_fmac_f64_e32 v[96:97], v[6:7], v[8:9]
	v_mul_f64 v[6:7], v[122:123], v[4:5]
	v_mul_f64 v[6:7], v[106:107], v[6:7]
	v_mul_f64 v[8:9], v[116:117], v[6:7]
	v_mul_f64 v[8:9], v[212:213], v[8:9]
	;; [unrolled: 27-line block ×3, first 2 shown]
	s_waitcnt lgkmcnt(0)
	v_fmac_f64_e32 v[96:97], v[8:9], v[10:11]
	ds_read_b64 v[10:11], v254 offset:728
	v_mul_f64 v[8:9], v[112:113], v[6:7]
	v_mul_f64 v[8:9], v[114:115], v[8:9]
	;; [unrolled: 1-line block ×4, first 2 shown]
	s_waitcnt lgkmcnt(0)
	v_fmac_f64_e32 v[96:97], v[8:9], v[10:11]
	ds_read_b64 v[10:11], v254 offset:736
	v_mul_f64 v[8:9], v[104:105], v[6:7]
	v_mul_f64 v[8:9], v[106:107], v[8:9]
	s_waitcnt lgkmcnt(0)
	v_fmac_f64_e32 v[96:97], v[8:9], v[10:11]
	ds_read_b64 v[10:11], v254 offset:744
	v_mul_f64 v[8:9], v[74:75], v[6:7]
	v_mul_f64 v[8:9], v[78:79], v[8:9]
	;; [unrolled: 1-line block ×4, first 2 shown]
	s_waitcnt lgkmcnt(0)
	v_fmac_f64_e32 v[96:97], v[8:9], v[10:11]
	ds_read_b64 v[8:9], v254 offset:752
	s_waitcnt lgkmcnt(0)
	v_fmac_f64_e32 v[96:97], v[6:7], v[8:9]
	ds_read_b64 v[8:9], v254 offset:760
	v_mul_f64 v[6:7], v[116:117], v[4:5]
	v_mul_f64 v[6:7], v[212:213], v[6:7]
	s_waitcnt lgkmcnt(0)
	v_fmac_f64_e32 v[96:97], v[6:7], v[8:9]
	ds_read_b64 v[8:9], v254 offset:768
	v_mul_f64 v[6:7], v[112:113], v[4:5]
	v_mul_f64 v[6:7], v[114:115], v[6:7]
	s_waitcnt lgkmcnt(0)
	v_fmac_f64_e32 v[96:97], v[6:7], v[8:9]
	ds_read_b64 v[8:9], v254 offset:776
	v_mul_f64 v[6:7], v[104:105], v[4:5]
	v_mul_f64 v[6:7], v[106:107], v[6:7]
	s_waitcnt lgkmcnt(0)
	v_fmac_f64_e32 v[96:97], v[6:7], v[8:9]
	ds_read_b64 v[8:9], v254 offset:784
	v_mul_f64 v[6:7], v[74:75], v[4:5]
	v_mul_f64 v[6:7], v[78:79], v[6:7]
	v_mul_f64 v[4:5], v[66:67], v[4:5]
	v_mul_f64 v[4:5], v[70:71], v[4:5]
	s_waitcnt lgkmcnt(0)
	v_fmac_f64_e32 v[96:97], v[6:7], v[8:9]
	ds_read_b64 v[6:7], v254 offset:792
	s_waitcnt lgkmcnt(0)
	v_fmac_f64_e32 v[96:97], v[4:5], v[6:7]
	ds_read_b64 v[4:5], v126 offset:128
	ds_read_b64 v[6:7], v255 offset:128
	;; [unrolled: 1-line block ×3, first 2 shown]
	s_waitcnt lgkmcnt(1)
	v_mul_f64 v[4:5], v[4:5], v[6:7]
	v_mul_f64 v[6:7], v[166:167], v[4:5]
	;; [unrolled: 1-line block ×5, first 2 shown]
	s_waitcnt lgkmcnt(0)
	v_fmac_f64_e32 v[96:97], v[10:11], v[8:9]
	ds_read_b64 v[10:11], v254 offset:808
	v_mul_f64 v[8:9], v[112:113], v[6:7]
	v_mul_f64 v[8:9], v[114:115], v[8:9]
	s_waitcnt lgkmcnt(0)
	v_fmac_f64_e32 v[96:97], v[10:11], v[8:9]
	ds_read_b64 v[10:11], v254 offset:816
	v_mul_f64 v[8:9], v[104:105], v[6:7]
	v_mul_f64 v[8:9], v[106:107], v[8:9]
	s_waitcnt lgkmcnt(0)
	v_fmac_f64_e32 v[96:97], v[10:11], v[8:9]
	ds_read_b64 v[10:11], v254 offset:824
	v_mul_f64 v[8:9], v[74:75], v[6:7]
	v_mul_f64 v[8:9], v[78:79], v[8:9]
	v_mul_f64 v[6:7], v[66:67], v[6:7]
	v_mul_f64 v[6:7], v[70:71], v[6:7]
	s_waitcnt lgkmcnt(0)
	v_fmac_f64_e32 v[96:97], v[10:11], v[8:9]
	ds_read_b64 v[8:9], v254 offset:832
	ds_read_b64 v[10:11], v254 offset:840
	s_waitcnt lgkmcnt(1)
	v_fmac_f64_e32 v[96:97], v[6:7], v[8:9]
	v_mul_f64 v[6:7], v[162:163], v[4:5]
	v_mul_f64 v[6:7], v[114:115], v[6:7]
	v_mul_f64 v[8:9], v[116:117], v[6:7]
	v_mul_f64 v[8:9], v[212:213], v[8:9]
	s_waitcnt lgkmcnt(0)
	v_fmac_f64_e32 v[96:97], v[8:9], v[10:11]
	ds_read_b64 v[10:11], v254 offset:848
	v_mul_f64 v[8:9], v[112:113], v[6:7]
	v_mul_f64 v[8:9], v[114:115], v[8:9]
	s_waitcnt lgkmcnt(0)
	v_fmac_f64_e32 v[96:97], v[8:9], v[10:11]
	ds_read_b64 v[10:11], v254 offset:856
	v_mul_f64 v[8:9], v[104:105], v[6:7]
	v_mul_f64 v[8:9], v[106:107], v[8:9]
	s_waitcnt lgkmcnt(0)
	v_fmac_f64_e32 v[96:97], v[8:9], v[10:11]
	ds_read_b64 v[10:11], v254 offset:864
	v_mul_f64 v[8:9], v[74:75], v[6:7]
	v_mul_f64 v[8:9], v[78:79], v[8:9]
	v_mul_f64 v[6:7], v[66:67], v[6:7]
	v_mul_f64 v[6:7], v[70:71], v[6:7]
	s_waitcnt lgkmcnt(0)
	v_fmac_f64_e32 v[96:97], v[8:9], v[10:11]
	ds_read_b64 v[8:9], v254 offset:872
	ds_read_b64 v[10:11], v254 offset:880
	s_waitcnt lgkmcnt(1)
	v_fmac_f64_e32 v[96:97], v[6:7], v[8:9]
	v_mul_f64 v[6:7], v[122:123], v[4:5]
	v_mul_f64 v[6:7], v[106:107], v[6:7]
	v_mul_f64 v[8:9], v[116:117], v[6:7]
	v_mul_f64 v[8:9], v[212:213], v[8:9]
	;; [unrolled: 27-line block ×3, first 2 shown]
	s_waitcnt lgkmcnt(0)
	v_fmac_f64_e32 v[96:97], v[8:9], v[10:11]
	ds_read_b64 v[10:11], v254 offset:928
	v_mul_f64 v[8:9], v[112:113], v[6:7]
	v_mul_f64 v[8:9], v[114:115], v[8:9]
	;; [unrolled: 1-line block ×4, first 2 shown]
	s_waitcnt lgkmcnt(0)
	v_fmac_f64_e32 v[96:97], v[8:9], v[10:11]
	ds_read_b64 v[10:11], v254 offset:936
	v_mul_f64 v[8:9], v[104:105], v[6:7]
	v_mul_f64 v[8:9], v[106:107], v[8:9]
	s_waitcnt lgkmcnt(0)
	v_fmac_f64_e32 v[96:97], v[8:9], v[10:11]
	ds_read_b64 v[10:11], v254 offset:944
	v_mul_f64 v[8:9], v[74:75], v[6:7]
	v_mul_f64 v[8:9], v[78:79], v[8:9]
	v_mul_f64 v[6:7], v[66:67], v[6:7]
	v_mul_f64 v[6:7], v[70:71], v[6:7]
	s_waitcnt lgkmcnt(0)
	v_fmac_f64_e32 v[96:97], v[8:9], v[10:11]
	ds_read_b64 v[8:9], v254 offset:952
	s_waitcnt lgkmcnt(0)
	v_fmac_f64_e32 v[96:97], v[6:7], v[8:9]
	ds_read_b64 v[8:9], v254 offset:960
	v_mul_f64 v[6:7], v[116:117], v[4:5]
	v_mul_f64 v[6:7], v[212:213], v[6:7]
	s_waitcnt lgkmcnt(0)
	v_fmac_f64_e32 v[96:97], v[6:7], v[8:9]
	ds_read_b64 v[8:9], v254 offset:968
	v_mul_f64 v[6:7], v[112:113], v[4:5]
	v_mul_f64 v[6:7], v[114:115], v[6:7]
	;; [unrolled: 5-line block ×4, first 2 shown]
	v_mul_f64 v[4:5], v[66:67], v[4:5]
	v_mul_f64 v[4:5], v[70:71], v[4:5]
	s_waitcnt lgkmcnt(0)
	v_fmac_f64_e32 v[96:97], v[6:7], v[8:9]
	ds_read_b64 v[6:7], v254 offset:992
	s_waitcnt lgkmcnt(0)
	v_fmac_f64_e32 v[96:97], v[4:5], v[6:7]
	buffer_load_dword v4, off, s[20:23], 0 offset:1776 ; 4-byte Folded Reload
	buffer_load_dword v5, off, s[20:23], 0 offset:1780 ; 4-byte Folded Reload
	s_waitcnt vmcnt(0)
	global_store_dwordx2 v[4:5], v[96:97], off offset:2048
	ds_read2_b64 v[228:231], v254 offset0:127 offset1:128
	ds_read_b64 v[36:37], v125
	ds_read_b64 v[32:33], v125 offset:32
	ds_read2_b64 v[242:245], v254 offset0:131 offset1:132
	ds_read_b64 v[26:27], v125 offset:64
	ds_read2_b64 v[238:241], v254 offset0:135 offset1:136
	;; [unrolled: 2-line block ×4, first 2 shown]
	ds_read_b64 v[74:75], v254 offset:1016
	ds_read_b64 v[78:79], v124
	ds_read_b64 v[66:67], v124 offset:32
	ds_read_b64 v[70:71], v254 offset:1048
	;; [unrolled: 1-line block ×8, first 2 shown]
	ds_read_b64 v[4:5], v126
	ds_read_b64 v[6:7], v126 offset:32
	ds_read_b64 v[8:9], v255
	ds_read_b64 v[10:11], v255 offset:32
	;; [unrolled: 2-line block ×3, first 2 shown]
	ds_read_b64 v[30:31], v254 offset:16
	ds_read_b64 v[88:89], v254 offset:24
	;; [unrolled: 1-line block ×6, first 2 shown]
	s_waitcnt lgkmcnt(9)
	v_mul_f64 v[4:5], v[4:5], v[8:9]
	v_mul_f64 v[8:9], v[78:79], v[4:5]
	;; [unrolled: 1-line block ×5, first 2 shown]
	s_waitcnt lgkmcnt(7)
	v_fma_f64 v[84:85], v[14:15], v[12:13], 0
	v_mul_f64 v[12:13], v[32:33], v[8:9]
	v_mul_f64 v[12:13], v[244:245], v[12:13]
	s_waitcnt lgkmcnt(6)
	v_fmac_f64_e32 v[84:85], v[28:29], v[12:13]
	v_mul_f64 v[12:13], v[26:27], v[8:9]
	v_mul_f64 v[12:13], v[240:241], v[12:13]
	s_waitcnt lgkmcnt(5)
	v_fmac_f64_e32 v[84:85], v[30:31], v[12:13]
	v_mul_f64 v[12:13], v[22:23], v[8:9]
	v_mul_f64 v[12:13], v[248:249], v[12:13]
	;; [unrolled: 1-line block ×3, first 2 shown]
	s_waitcnt lgkmcnt(4)
	v_fmac_f64_e32 v[84:85], v[88:89], v[12:13]
	v_mul_f64 v[8:9], v[120:121], v[8:9]
	s_waitcnt lgkmcnt(3)
	v_fmac_f64_e32 v[84:85], v[8:9], v[92:93]
	v_mul_f64 v[8:9], v[66:67], v[4:5]
	v_mul_f64 v[8:9], v[70:71], v[8:9]
	;; [unrolled: 1-line block ×4, first 2 shown]
	s_waitcnt lgkmcnt(2)
	v_fmac_f64_e32 v[84:85], v[12:13], v[96:97]
	v_mul_f64 v[12:13], v[32:33], v[8:9]
	v_mul_f64 v[12:13], v[244:245], v[12:13]
	ds_read_b64 v[14:15], v254 offset:64
	s_waitcnt lgkmcnt(2)
	v_fmac_f64_e32 v[84:85], v[12:13], v[98:99]
	v_mul_f64 v[12:13], v[26:27], v[8:9]
	v_mul_f64 v[12:13], v[240:241], v[12:13]
	s_waitcnt lgkmcnt(1)
	v_fmac_f64_e32 v[84:85], v[12:13], v[102:103]
	v_mul_f64 v[12:13], v[22:23], v[8:9]
	v_mul_f64 v[12:13], v[248:249], v[12:13]
	s_waitcnt lgkmcnt(0)
	v_fmac_f64_e32 v[84:85], v[12:13], v[14:15]
	ds_read_b64 v[12:13], v254 offset:72
	ds_read_b64 v[14:15], v254 offset:80
	v_mul_f64 v[8:9], v[18:19], v[8:9]
	v_mul_f64 v[8:9], v[120:121], v[8:9]
	s_waitcnt lgkmcnt(1)
	v_fmac_f64_e32 v[84:85], v[8:9], v[12:13]
	v_mul_f64 v[8:9], v[56:57], v[4:5]
	v_mul_f64 v[8:9], v[62:63], v[8:9]
	;; [unrolled: 1-line block ×4, first 2 shown]
	s_waitcnt lgkmcnt(0)
	v_fmac_f64_e32 v[84:85], v[12:13], v[14:15]
	ds_read_b64 v[14:15], v254 offset:88
	v_mul_f64 v[12:13], v[32:33], v[8:9]
	v_mul_f64 v[12:13], v[244:245], v[12:13]
	s_waitcnt lgkmcnt(0)
	v_fmac_f64_e32 v[84:85], v[12:13], v[14:15]
	ds_read_b64 v[14:15], v254 offset:96
	v_mul_f64 v[12:13], v[26:27], v[8:9]
	v_mul_f64 v[12:13], v[240:241], v[12:13]
	;; [unrolled: 5-line block ×3, first 2 shown]
	v_mul_f64 v[8:9], v[18:19], v[8:9]
	v_mul_f64 v[8:9], v[120:121], v[8:9]
	s_waitcnt lgkmcnt(0)
	v_fmac_f64_e32 v[84:85], v[12:13], v[14:15]
	ds_read_b64 v[12:13], v254 offset:112
	ds_read_b64 v[14:15], v254 offset:120
	s_waitcnt lgkmcnt(1)
	v_fmac_f64_e32 v[84:85], v[8:9], v[12:13]
	v_mul_f64 v[8:9], v[48:49], v[4:5]
	v_mul_f64 v[8:9], v[52:53], v[8:9]
	;; [unrolled: 1-line block ×4, first 2 shown]
	s_waitcnt lgkmcnt(0)
	v_fmac_f64_e32 v[84:85], v[12:13], v[14:15]
	ds_read_b64 v[14:15], v254 offset:128
	v_mul_f64 v[12:13], v[32:33], v[8:9]
	v_mul_f64 v[12:13], v[244:245], v[12:13]
	v_mul_f64 v[4:5], v[40:41], v[4:5]
	v_mul_f64 v[4:5], v[44:45], v[4:5]
	s_waitcnt lgkmcnt(0)
	v_fmac_f64_e32 v[84:85], v[12:13], v[14:15]
	ds_read_b64 v[14:15], v254 offset:136
	v_mul_f64 v[12:13], v[26:27], v[8:9]
	v_mul_f64 v[12:13], v[240:241], v[12:13]
	s_waitcnt lgkmcnt(0)
	v_fmac_f64_e32 v[84:85], v[12:13], v[14:15]
	ds_read_b64 v[14:15], v254 offset:144
	v_mul_f64 v[12:13], v[22:23], v[8:9]
	v_mul_f64 v[12:13], v[248:249], v[12:13]
	;; [unrolled: 1-line block ×4, first 2 shown]
	s_waitcnt lgkmcnt(0)
	v_fmac_f64_e32 v[84:85], v[12:13], v[14:15]
	ds_read_b64 v[12:13], v254 offset:152
	s_waitcnt lgkmcnt(0)
	v_fmac_f64_e32 v[84:85], v[8:9], v[12:13]
	ds_read_b64 v[12:13], v254 offset:160
	v_mul_f64 v[8:9], v[36:37], v[4:5]
	v_mul_f64 v[8:9], v[230:231], v[8:9]
	s_waitcnt lgkmcnt(0)
	v_fmac_f64_e32 v[84:85], v[8:9], v[12:13]
	ds_read_b64 v[12:13], v254 offset:168
	v_mul_f64 v[8:9], v[32:33], v[4:5]
	v_mul_f64 v[8:9], v[244:245], v[8:9]
	;; [unrolled: 5-line block ×4, first 2 shown]
	v_mul_f64 v[4:5], v[18:19], v[4:5]
	v_mul_f64 v[4:5], v[120:121], v[4:5]
	s_waitcnt lgkmcnt(0)
	v_fmac_f64_e32 v[84:85], v[8:9], v[12:13]
	ds_read_b64 v[8:9], v254 offset:192
	s_waitcnt lgkmcnt(0)
	v_fmac_f64_e32 v[84:85], v[4:5], v[8:9]
	v_mul_f64 v[4:5], v[6:7], v[10:11]
	ds_read_b64 v[10:11], v254 offset:200
	v_mul_f64 v[6:7], v[78:79], v[4:5]
	v_mul_f64 v[6:7], v[74:75], v[6:7]
	v_mul_f64 v[8:9], v[36:37], v[6:7]
	v_mul_f64 v[8:9], v[230:231], v[8:9]
	s_waitcnt lgkmcnt(0)
	v_fmac_f64_e32 v[84:85], v[10:11], v[8:9]
	ds_read_b64 v[10:11], v254 offset:208
	v_mul_f64 v[8:9], v[32:33], v[6:7]
	v_mul_f64 v[8:9], v[244:245], v[8:9]
	s_waitcnt lgkmcnt(0)
	v_fmac_f64_e32 v[84:85], v[10:11], v[8:9]
	ds_read_b64 v[10:11], v254 offset:216
	v_mul_f64 v[8:9], v[26:27], v[6:7]
	v_mul_f64 v[8:9], v[240:241], v[8:9]
	s_waitcnt lgkmcnt(0)
	v_fmac_f64_e32 v[84:85], v[10:11], v[8:9]
	ds_read_b64 v[10:11], v254 offset:224
	v_mul_f64 v[8:9], v[22:23], v[6:7]
	v_mul_f64 v[8:9], v[248:249], v[8:9]
	v_mul_f64 v[6:7], v[18:19], v[6:7]
	v_mul_f64 v[6:7], v[120:121], v[6:7]
	s_waitcnt lgkmcnt(0)
	v_fmac_f64_e32 v[84:85], v[10:11], v[8:9]
	ds_read_b64 v[8:9], v254 offset:232
	ds_read_b64 v[10:11], v254 offset:240
	s_waitcnt lgkmcnt(1)
	v_fmac_f64_e32 v[84:85], v[6:7], v[8:9]
	v_mul_f64 v[6:7], v[66:67], v[4:5]
	v_mul_f64 v[6:7], v[70:71], v[6:7]
	v_mul_f64 v[8:9], v[36:37], v[6:7]
	v_mul_f64 v[8:9], v[230:231], v[8:9]
	s_waitcnt lgkmcnt(0)
	v_fmac_f64_e32 v[84:85], v[8:9], v[10:11]
	ds_read_b64 v[10:11], v254 offset:248
	v_mul_f64 v[8:9], v[32:33], v[6:7]
	v_mul_f64 v[8:9], v[244:245], v[8:9]
	s_waitcnt lgkmcnt(0)
	v_fmac_f64_e32 v[84:85], v[8:9], v[10:11]
	ds_read_b64 v[10:11], v254 offset:256
	v_mul_f64 v[8:9], v[26:27], v[6:7]
	v_mul_f64 v[8:9], v[240:241], v[8:9]
	s_waitcnt lgkmcnt(0)
	v_fmac_f64_e32 v[84:85], v[8:9], v[10:11]
	ds_read_b64 v[10:11], v254 offset:264
	v_mul_f64 v[8:9], v[22:23], v[6:7]
	v_mul_f64 v[8:9], v[248:249], v[8:9]
	v_mul_f64 v[6:7], v[18:19], v[6:7]
	v_mul_f64 v[6:7], v[120:121], v[6:7]
	s_waitcnt lgkmcnt(0)
	v_fmac_f64_e32 v[84:85], v[8:9], v[10:11]
	ds_read_b64 v[8:9], v254 offset:272
	ds_read_b64 v[10:11], v254 offset:280
	s_waitcnt lgkmcnt(1)
	v_fmac_f64_e32 v[84:85], v[6:7], v[8:9]
	;; [unrolled: 27-line block ×3, first 2 shown]
	v_mul_f64 v[6:7], v[48:49], v[4:5]
	v_mul_f64 v[6:7], v[52:53], v[6:7]
	;; [unrolled: 1-line block ×4, first 2 shown]
	s_waitcnt lgkmcnt(0)
	v_fmac_f64_e32 v[84:85], v[8:9], v[10:11]
	ds_read_b64 v[10:11], v254 offset:328
	v_mul_f64 v[8:9], v[32:33], v[6:7]
	v_mul_f64 v[8:9], v[244:245], v[8:9]
	v_mul_f64 v[4:5], v[40:41], v[4:5]
	v_mul_f64 v[4:5], v[44:45], v[4:5]
	s_waitcnt lgkmcnt(0)
	v_fmac_f64_e32 v[84:85], v[8:9], v[10:11]
	ds_read_b64 v[10:11], v254 offset:336
	v_mul_f64 v[8:9], v[26:27], v[6:7]
	v_mul_f64 v[8:9], v[240:241], v[8:9]
	s_waitcnt lgkmcnt(0)
	v_fmac_f64_e32 v[84:85], v[8:9], v[10:11]
	ds_read_b64 v[10:11], v254 offset:344
	v_mul_f64 v[8:9], v[22:23], v[6:7]
	v_mul_f64 v[8:9], v[248:249], v[8:9]
	v_mul_f64 v[6:7], v[18:19], v[6:7]
	v_mul_f64 v[6:7], v[120:121], v[6:7]
	s_waitcnt lgkmcnt(0)
	v_fmac_f64_e32 v[84:85], v[8:9], v[10:11]
	ds_read_b64 v[8:9], v254 offset:352
	s_waitcnt lgkmcnt(0)
	v_fmac_f64_e32 v[84:85], v[6:7], v[8:9]
	ds_read_b64 v[8:9], v254 offset:360
	v_mul_f64 v[6:7], v[36:37], v[4:5]
	v_mul_f64 v[6:7], v[230:231], v[6:7]
	s_waitcnt lgkmcnt(0)
	v_fmac_f64_e32 v[84:85], v[6:7], v[8:9]
	ds_read_b64 v[8:9], v254 offset:368
	v_mul_f64 v[6:7], v[32:33], v[4:5]
	v_mul_f64 v[6:7], v[244:245], v[6:7]
	;; [unrolled: 5-line block ×4, first 2 shown]
	v_mul_f64 v[4:5], v[18:19], v[4:5]
	v_mul_f64 v[4:5], v[120:121], v[4:5]
	s_waitcnt lgkmcnt(0)
	v_fmac_f64_e32 v[84:85], v[6:7], v[8:9]
	ds_read_b64 v[6:7], v254 offset:392
	s_waitcnt lgkmcnt(0)
	v_fmac_f64_e32 v[84:85], v[4:5], v[6:7]
	ds_read_b64 v[4:5], v126 offset:64
	ds_read_b64 v[6:7], v255 offset:64
	;; [unrolled: 1-line block ×3, first 2 shown]
	s_waitcnt lgkmcnt(1)
	v_mul_f64 v[4:5], v[4:5], v[6:7]
	v_mul_f64 v[6:7], v[78:79], v[4:5]
	v_mul_f64 v[6:7], v[74:75], v[6:7]
	v_mul_f64 v[8:9], v[36:37], v[6:7]
	v_mul_f64 v[8:9], v[230:231], v[8:9]
	s_waitcnt lgkmcnt(0)
	v_fmac_f64_e32 v[84:85], v[10:11], v[8:9]
	ds_read_b64 v[10:11], v254 offset:408
	v_mul_f64 v[8:9], v[32:33], v[6:7]
	v_mul_f64 v[8:9], v[244:245], v[8:9]
	s_waitcnt lgkmcnt(0)
	v_fmac_f64_e32 v[84:85], v[10:11], v[8:9]
	ds_read_b64 v[10:11], v254 offset:416
	v_mul_f64 v[8:9], v[26:27], v[6:7]
	v_mul_f64 v[8:9], v[240:241], v[8:9]
	s_waitcnt lgkmcnt(0)
	v_fmac_f64_e32 v[84:85], v[10:11], v[8:9]
	ds_read_b64 v[10:11], v254 offset:424
	v_mul_f64 v[8:9], v[22:23], v[6:7]
	v_mul_f64 v[8:9], v[248:249], v[8:9]
	v_mul_f64 v[6:7], v[18:19], v[6:7]
	v_mul_f64 v[6:7], v[120:121], v[6:7]
	s_waitcnt lgkmcnt(0)
	v_fmac_f64_e32 v[84:85], v[10:11], v[8:9]
	ds_read_b64 v[8:9], v254 offset:432
	ds_read_b64 v[10:11], v254 offset:440
	s_waitcnt lgkmcnt(1)
	v_fmac_f64_e32 v[84:85], v[6:7], v[8:9]
	v_mul_f64 v[6:7], v[66:67], v[4:5]
	v_mul_f64 v[6:7], v[70:71], v[6:7]
	v_mul_f64 v[8:9], v[36:37], v[6:7]
	v_mul_f64 v[8:9], v[230:231], v[8:9]
	s_waitcnt lgkmcnt(0)
	v_fmac_f64_e32 v[84:85], v[8:9], v[10:11]
	ds_read_b64 v[10:11], v254 offset:448
	v_mul_f64 v[8:9], v[32:33], v[6:7]
	v_mul_f64 v[8:9], v[244:245], v[8:9]
	s_waitcnt lgkmcnt(0)
	v_fmac_f64_e32 v[84:85], v[8:9], v[10:11]
	ds_read_b64 v[10:11], v254 offset:456
	v_mul_f64 v[8:9], v[26:27], v[6:7]
	v_mul_f64 v[8:9], v[240:241], v[8:9]
	s_waitcnt lgkmcnt(0)
	v_fmac_f64_e32 v[84:85], v[8:9], v[10:11]
	ds_read_b64 v[10:11], v254 offset:464
	v_mul_f64 v[8:9], v[22:23], v[6:7]
	v_mul_f64 v[8:9], v[248:249], v[8:9]
	v_mul_f64 v[6:7], v[18:19], v[6:7]
	v_mul_f64 v[6:7], v[120:121], v[6:7]
	s_waitcnt lgkmcnt(0)
	v_fmac_f64_e32 v[84:85], v[8:9], v[10:11]
	ds_read_b64 v[8:9], v254 offset:472
	ds_read_b64 v[10:11], v254 offset:480
	s_waitcnt lgkmcnt(1)
	v_fmac_f64_e32 v[84:85], v[6:7], v[8:9]
	v_mul_f64 v[6:7], v[56:57], v[4:5]
	v_mul_f64 v[6:7], v[62:63], v[6:7]
	v_mul_f64 v[8:9], v[36:37], v[6:7]
	v_mul_f64 v[8:9], v[230:231], v[8:9]
	;; [unrolled: 27-line block ×3, first 2 shown]
	s_waitcnt lgkmcnt(0)
	v_fmac_f64_e32 v[84:85], v[8:9], v[10:11]
	ds_read_b64 v[10:11], v254 offset:528
	v_mul_f64 v[8:9], v[32:33], v[6:7]
	v_mul_f64 v[8:9], v[244:245], v[8:9]
	;; [unrolled: 1-line block ×4, first 2 shown]
	s_waitcnt lgkmcnt(0)
	v_fmac_f64_e32 v[84:85], v[8:9], v[10:11]
	ds_read_b64 v[10:11], v254 offset:536
	v_mul_f64 v[8:9], v[26:27], v[6:7]
	v_mul_f64 v[8:9], v[240:241], v[8:9]
	s_waitcnt lgkmcnt(0)
	v_fmac_f64_e32 v[84:85], v[8:9], v[10:11]
	ds_read_b64 v[10:11], v254 offset:544
	v_mul_f64 v[8:9], v[22:23], v[6:7]
	v_mul_f64 v[8:9], v[248:249], v[8:9]
	;; [unrolled: 1-line block ×4, first 2 shown]
	s_waitcnt lgkmcnt(0)
	v_fmac_f64_e32 v[84:85], v[8:9], v[10:11]
	ds_read_b64 v[8:9], v254 offset:552
	s_waitcnt lgkmcnt(0)
	v_fmac_f64_e32 v[84:85], v[6:7], v[8:9]
	ds_read_b64 v[8:9], v254 offset:560
	v_mul_f64 v[6:7], v[36:37], v[4:5]
	v_mul_f64 v[6:7], v[230:231], v[6:7]
	s_waitcnt lgkmcnt(0)
	v_fmac_f64_e32 v[84:85], v[6:7], v[8:9]
	ds_read_b64 v[8:9], v254 offset:568
	v_mul_f64 v[6:7], v[32:33], v[4:5]
	v_mul_f64 v[6:7], v[244:245], v[6:7]
	;; [unrolled: 5-line block ×4, first 2 shown]
	v_mul_f64 v[4:5], v[18:19], v[4:5]
	v_mul_f64 v[4:5], v[120:121], v[4:5]
	s_waitcnt lgkmcnt(0)
	v_fmac_f64_e32 v[84:85], v[6:7], v[8:9]
	ds_read_b64 v[6:7], v254 offset:592
	s_waitcnt lgkmcnt(0)
	v_fmac_f64_e32 v[84:85], v[4:5], v[6:7]
	ds_read_b64 v[4:5], v126 offset:96
	ds_read_b64 v[6:7], v255 offset:96
	ds_read_b64 v[10:11], v254 offset:600
	s_waitcnt lgkmcnt(1)
	v_mul_f64 v[4:5], v[4:5], v[6:7]
	v_mul_f64 v[6:7], v[78:79], v[4:5]
	;; [unrolled: 1-line block ×5, first 2 shown]
	s_waitcnt lgkmcnt(0)
	v_fmac_f64_e32 v[84:85], v[10:11], v[8:9]
	ds_read_b64 v[10:11], v254 offset:608
	v_mul_f64 v[8:9], v[32:33], v[6:7]
	v_mul_f64 v[8:9], v[244:245], v[8:9]
	s_waitcnt lgkmcnt(0)
	v_fmac_f64_e32 v[84:85], v[10:11], v[8:9]
	ds_read_b64 v[10:11], v254 offset:616
	v_mul_f64 v[8:9], v[26:27], v[6:7]
	v_mul_f64 v[8:9], v[240:241], v[8:9]
	s_waitcnt lgkmcnt(0)
	v_fmac_f64_e32 v[84:85], v[10:11], v[8:9]
	ds_read_b64 v[10:11], v254 offset:624
	v_mul_f64 v[8:9], v[22:23], v[6:7]
	v_mul_f64 v[8:9], v[248:249], v[8:9]
	v_mul_f64 v[6:7], v[18:19], v[6:7]
	v_mul_f64 v[6:7], v[120:121], v[6:7]
	s_waitcnt lgkmcnt(0)
	v_fmac_f64_e32 v[84:85], v[10:11], v[8:9]
	ds_read_b64 v[8:9], v254 offset:632
	ds_read_b64 v[10:11], v254 offset:640
	s_waitcnt lgkmcnt(1)
	v_fmac_f64_e32 v[84:85], v[6:7], v[8:9]
	v_mul_f64 v[6:7], v[66:67], v[4:5]
	v_mul_f64 v[6:7], v[70:71], v[6:7]
	v_mul_f64 v[8:9], v[36:37], v[6:7]
	v_mul_f64 v[8:9], v[230:231], v[8:9]
	s_waitcnt lgkmcnt(0)
	v_fmac_f64_e32 v[84:85], v[8:9], v[10:11]
	ds_read_b64 v[10:11], v254 offset:648
	v_mul_f64 v[8:9], v[32:33], v[6:7]
	v_mul_f64 v[8:9], v[244:245], v[8:9]
	s_waitcnt lgkmcnt(0)
	v_fmac_f64_e32 v[84:85], v[8:9], v[10:11]
	ds_read_b64 v[10:11], v254 offset:656
	v_mul_f64 v[8:9], v[26:27], v[6:7]
	v_mul_f64 v[8:9], v[240:241], v[8:9]
	s_waitcnt lgkmcnt(0)
	v_fmac_f64_e32 v[84:85], v[8:9], v[10:11]
	ds_read_b64 v[10:11], v254 offset:664
	v_mul_f64 v[8:9], v[22:23], v[6:7]
	v_mul_f64 v[8:9], v[248:249], v[8:9]
	v_mul_f64 v[6:7], v[18:19], v[6:7]
	v_mul_f64 v[6:7], v[120:121], v[6:7]
	s_waitcnt lgkmcnt(0)
	v_fmac_f64_e32 v[84:85], v[8:9], v[10:11]
	ds_read_b64 v[8:9], v254 offset:672
	ds_read_b64 v[10:11], v254 offset:680
	s_waitcnt lgkmcnt(1)
	v_fmac_f64_e32 v[84:85], v[6:7], v[8:9]
	v_mul_f64 v[6:7], v[56:57], v[4:5]
	v_mul_f64 v[6:7], v[62:63], v[6:7]
	v_mul_f64 v[8:9], v[36:37], v[6:7]
	v_mul_f64 v[8:9], v[230:231], v[8:9]
	;; [unrolled: 27-line block ×3, first 2 shown]
	s_waitcnt lgkmcnt(0)
	v_fmac_f64_e32 v[84:85], v[8:9], v[10:11]
	ds_read_b64 v[10:11], v254 offset:728
	v_mul_f64 v[8:9], v[32:33], v[6:7]
	v_mul_f64 v[8:9], v[244:245], v[8:9]
	;; [unrolled: 1-line block ×4, first 2 shown]
	s_waitcnt lgkmcnt(0)
	v_fmac_f64_e32 v[84:85], v[8:9], v[10:11]
	ds_read_b64 v[10:11], v254 offset:736
	v_mul_f64 v[8:9], v[26:27], v[6:7]
	v_mul_f64 v[8:9], v[240:241], v[8:9]
	s_waitcnt lgkmcnt(0)
	v_fmac_f64_e32 v[84:85], v[8:9], v[10:11]
	ds_read_b64 v[10:11], v254 offset:744
	v_mul_f64 v[8:9], v[22:23], v[6:7]
	v_mul_f64 v[8:9], v[248:249], v[8:9]
	;; [unrolled: 1-line block ×4, first 2 shown]
	s_waitcnt lgkmcnt(0)
	v_fmac_f64_e32 v[84:85], v[8:9], v[10:11]
	ds_read_b64 v[8:9], v254 offset:752
	s_waitcnt lgkmcnt(0)
	v_fmac_f64_e32 v[84:85], v[6:7], v[8:9]
	ds_read_b64 v[8:9], v254 offset:760
	v_mul_f64 v[6:7], v[36:37], v[4:5]
	v_mul_f64 v[6:7], v[230:231], v[6:7]
	s_waitcnt lgkmcnt(0)
	v_fmac_f64_e32 v[84:85], v[6:7], v[8:9]
	ds_read_b64 v[8:9], v254 offset:768
	v_mul_f64 v[6:7], v[32:33], v[4:5]
	v_mul_f64 v[6:7], v[244:245], v[6:7]
	;; [unrolled: 5-line block ×4, first 2 shown]
	v_mul_f64 v[4:5], v[18:19], v[4:5]
	v_mul_f64 v[4:5], v[120:121], v[4:5]
	s_waitcnt lgkmcnt(0)
	v_fmac_f64_e32 v[84:85], v[6:7], v[8:9]
	ds_read_b64 v[6:7], v254 offset:792
	s_waitcnt lgkmcnt(0)
	v_fmac_f64_e32 v[84:85], v[4:5], v[6:7]
	ds_read_b64 v[4:5], v126 offset:128
	ds_read_b64 v[6:7], v255 offset:128
	ds_read_b64 v[10:11], v254 offset:800
	s_waitcnt lgkmcnt(1)
	v_mul_f64 v[4:5], v[4:5], v[6:7]
	v_mul_f64 v[6:7], v[78:79], v[4:5]
	;; [unrolled: 1-line block ×5, first 2 shown]
	s_waitcnt lgkmcnt(0)
	v_fmac_f64_e32 v[84:85], v[10:11], v[8:9]
	ds_read_b64 v[10:11], v254 offset:808
	v_mul_f64 v[8:9], v[32:33], v[6:7]
	v_mul_f64 v[8:9], v[244:245], v[8:9]
	s_waitcnt lgkmcnt(0)
	v_fmac_f64_e32 v[84:85], v[10:11], v[8:9]
	ds_read_b64 v[10:11], v254 offset:816
	v_mul_f64 v[8:9], v[26:27], v[6:7]
	v_mul_f64 v[8:9], v[240:241], v[8:9]
	s_waitcnt lgkmcnt(0)
	v_fmac_f64_e32 v[84:85], v[10:11], v[8:9]
	ds_read_b64 v[10:11], v254 offset:824
	v_mul_f64 v[8:9], v[22:23], v[6:7]
	v_mul_f64 v[8:9], v[248:249], v[8:9]
	v_mul_f64 v[6:7], v[18:19], v[6:7]
	v_mul_f64 v[6:7], v[120:121], v[6:7]
	s_waitcnt lgkmcnt(0)
	v_fmac_f64_e32 v[84:85], v[10:11], v[8:9]
	ds_read_b64 v[8:9], v254 offset:832
	ds_read_b64 v[10:11], v254 offset:840
	s_waitcnt lgkmcnt(1)
	v_fmac_f64_e32 v[84:85], v[6:7], v[8:9]
	v_mul_f64 v[6:7], v[66:67], v[4:5]
	v_mul_f64 v[6:7], v[70:71], v[6:7]
	v_mul_f64 v[8:9], v[36:37], v[6:7]
	v_mul_f64 v[8:9], v[230:231], v[8:9]
	s_waitcnt lgkmcnt(0)
	v_fmac_f64_e32 v[84:85], v[8:9], v[10:11]
	ds_read_b64 v[10:11], v254 offset:848
	v_mul_f64 v[8:9], v[32:33], v[6:7]
	v_mul_f64 v[8:9], v[244:245], v[8:9]
	s_waitcnt lgkmcnt(0)
	v_fmac_f64_e32 v[84:85], v[8:9], v[10:11]
	ds_read_b64 v[10:11], v254 offset:856
	v_mul_f64 v[8:9], v[26:27], v[6:7]
	v_mul_f64 v[8:9], v[240:241], v[8:9]
	s_waitcnt lgkmcnt(0)
	v_fmac_f64_e32 v[84:85], v[8:9], v[10:11]
	ds_read_b64 v[10:11], v254 offset:864
	v_mul_f64 v[8:9], v[22:23], v[6:7]
	v_mul_f64 v[8:9], v[248:249], v[8:9]
	v_mul_f64 v[6:7], v[18:19], v[6:7]
	v_mul_f64 v[6:7], v[120:121], v[6:7]
	s_waitcnt lgkmcnt(0)
	v_fmac_f64_e32 v[84:85], v[8:9], v[10:11]
	ds_read_b64 v[8:9], v254 offset:872
	ds_read_b64 v[10:11], v254 offset:880
	s_waitcnt lgkmcnt(1)
	v_fmac_f64_e32 v[84:85], v[6:7], v[8:9]
	v_mul_f64 v[6:7], v[56:57], v[4:5]
	v_mul_f64 v[6:7], v[62:63], v[6:7]
	v_mul_f64 v[8:9], v[36:37], v[6:7]
	v_mul_f64 v[8:9], v[230:231], v[8:9]
	;; [unrolled: 27-line block ×3, first 2 shown]
	s_waitcnt lgkmcnt(0)
	v_fmac_f64_e32 v[84:85], v[8:9], v[10:11]
	ds_read_b64 v[10:11], v254 offset:928
	v_mul_f64 v[8:9], v[32:33], v[6:7]
	v_mul_f64 v[8:9], v[244:245], v[8:9]
	;; [unrolled: 1-line block ×4, first 2 shown]
	s_waitcnt lgkmcnt(0)
	v_fmac_f64_e32 v[84:85], v[8:9], v[10:11]
	ds_read_b64 v[10:11], v254 offset:936
	v_mul_f64 v[8:9], v[26:27], v[6:7]
	v_mul_f64 v[8:9], v[240:241], v[8:9]
	s_waitcnt lgkmcnt(0)
	v_fmac_f64_e32 v[84:85], v[8:9], v[10:11]
	ds_read_b64 v[10:11], v254 offset:944
	v_mul_f64 v[8:9], v[22:23], v[6:7]
	v_mul_f64 v[8:9], v[248:249], v[8:9]
	v_mul_f64 v[6:7], v[18:19], v[6:7]
	v_mul_f64 v[6:7], v[120:121], v[6:7]
	s_waitcnt lgkmcnt(0)
	v_fmac_f64_e32 v[84:85], v[8:9], v[10:11]
	ds_read_b64 v[8:9], v254 offset:952
	s_waitcnt lgkmcnt(0)
	v_fmac_f64_e32 v[84:85], v[6:7], v[8:9]
	ds_read_b64 v[8:9], v254 offset:960
	v_mul_f64 v[6:7], v[36:37], v[4:5]
	v_mul_f64 v[6:7], v[230:231], v[6:7]
	s_waitcnt lgkmcnt(0)
	v_fmac_f64_e32 v[84:85], v[6:7], v[8:9]
	ds_read_b64 v[8:9], v254 offset:968
	v_mul_f64 v[6:7], v[32:33], v[4:5]
	v_mul_f64 v[6:7], v[244:245], v[6:7]
	;; [unrolled: 5-line block ×4, first 2 shown]
	v_mul_f64 v[4:5], v[18:19], v[4:5]
	v_mul_f64 v[4:5], v[120:121], v[4:5]
	s_waitcnt lgkmcnt(0)
	v_fmac_f64_e32 v[84:85], v[6:7], v[8:9]
	ds_read_b64 v[6:7], v254 offset:992
	s_waitcnt lgkmcnt(0)
	v_fmac_f64_e32 v[84:85], v[4:5], v[6:7]
	global_store_dwordx2 v[192:193], v[84:85], off offset:2048
	ds_read_b64 v[36:37], v125
	ds_read_b128 v[224:227], v254 offset:1024
	ds_read_b64 v[32:33], v125 offset:32
	ds_read_b128 v[220:223], v254 offset:1056
	ds_read_b64 v[26:27], v125 offset:64
	;; [unrolled: 2-line block ×4, first 2 shown]
	ds_read_b128 v[120:123], v254 offset:1152
	ds_read_b64 v[74:75], v124
	ds_read_b64 v[78:79], v254 offset:1016
	ds_read_b64 v[66:67], v124 offset:32
	;; [unrolled: 1-line block ×9, first 2 shown]
	ds_read_b64 v[4:5], v126
	ds_read_b64 v[6:7], v126 offset:32
	ds_read_b64 v[8:9], v255
	ds_read_b64 v[10:11], v255 offset:32
	;; [unrolled: 2-line block ×3, first 2 shown]
	ds_read_b64 v[30:31], v254 offset:16
	ds_read_b64 v[88:89], v254 offset:24
	;; [unrolled: 1-line block ×6, first 2 shown]
	s_waitcnt lgkmcnt(9)
	v_mul_f64 v[4:5], v[4:5], v[8:9]
	v_mul_f64 v[8:9], v[74:75], v[4:5]
	;; [unrolled: 1-line block ×5, first 2 shown]
	s_waitcnt lgkmcnt(7)
	v_fma_f64 v[84:85], v[14:15], v[12:13], 0
	v_mul_f64 v[12:13], v[32:33], v[8:9]
	v_mul_f64 v[12:13], v[222:223], v[12:13]
	s_waitcnt lgkmcnt(6)
	v_fmac_f64_e32 v[84:85], v[28:29], v[12:13]
	v_mul_f64 v[12:13], v[26:27], v[8:9]
	v_mul_f64 v[12:13], v[236:237], v[12:13]
	s_waitcnt lgkmcnt(5)
	v_fmac_f64_e32 v[84:85], v[30:31], v[12:13]
	v_mul_f64 v[12:13], v[22:23], v[8:9]
	v_mul_f64 v[12:13], v[232:233], v[12:13]
	;; [unrolled: 1-line block ×3, first 2 shown]
	s_waitcnt lgkmcnt(4)
	v_fmac_f64_e32 v[84:85], v[88:89], v[12:13]
	v_mul_f64 v[8:9], v[122:123], v[8:9]
	s_waitcnt lgkmcnt(3)
	v_fmac_f64_e32 v[84:85], v[8:9], v[92:93]
	v_mul_f64 v[8:9], v[66:67], v[4:5]
	v_mul_f64 v[8:9], v[70:71], v[8:9]
	;; [unrolled: 1-line block ×4, first 2 shown]
	s_waitcnt lgkmcnt(2)
	v_fmac_f64_e32 v[84:85], v[12:13], v[96:97]
	v_mul_f64 v[12:13], v[32:33], v[8:9]
	v_mul_f64 v[12:13], v[222:223], v[12:13]
	ds_read_b64 v[14:15], v254 offset:64
	s_waitcnt lgkmcnt(2)
	v_fmac_f64_e32 v[84:85], v[12:13], v[98:99]
	v_mul_f64 v[12:13], v[26:27], v[8:9]
	v_mul_f64 v[12:13], v[236:237], v[12:13]
	s_waitcnt lgkmcnt(1)
	v_fmac_f64_e32 v[84:85], v[12:13], v[100:101]
	v_mul_f64 v[12:13], v[22:23], v[8:9]
	v_mul_f64 v[12:13], v[232:233], v[12:13]
	s_waitcnt lgkmcnt(0)
	v_fmac_f64_e32 v[84:85], v[12:13], v[14:15]
	ds_read_b64 v[12:13], v254 offset:72
	ds_read_b64 v[14:15], v254 offset:80
	v_mul_f64 v[8:9], v[18:19], v[8:9]
	v_mul_f64 v[8:9], v[122:123], v[8:9]
	s_waitcnt lgkmcnt(1)
	v_fmac_f64_e32 v[84:85], v[8:9], v[12:13]
	v_mul_f64 v[8:9], v[56:57], v[4:5]
	v_mul_f64 v[8:9], v[62:63], v[8:9]
	;; [unrolled: 1-line block ×4, first 2 shown]
	s_waitcnt lgkmcnt(0)
	v_fmac_f64_e32 v[84:85], v[12:13], v[14:15]
	ds_read_b64 v[14:15], v254 offset:88
	v_mul_f64 v[12:13], v[32:33], v[8:9]
	v_mul_f64 v[12:13], v[222:223], v[12:13]
	s_waitcnt lgkmcnt(0)
	v_fmac_f64_e32 v[84:85], v[12:13], v[14:15]
	ds_read_b64 v[14:15], v254 offset:96
	v_mul_f64 v[12:13], v[26:27], v[8:9]
	v_mul_f64 v[12:13], v[236:237], v[12:13]
	s_waitcnt lgkmcnt(0)
	v_fmac_f64_e32 v[84:85], v[12:13], v[14:15]
	ds_read_b64 v[14:15], v254 offset:104
	v_mul_f64 v[12:13], v[22:23], v[8:9]
	v_mul_f64 v[12:13], v[232:233], v[12:13]
	v_mul_f64 v[8:9], v[18:19], v[8:9]
	v_mul_f64 v[8:9], v[122:123], v[8:9]
	s_waitcnt lgkmcnt(0)
	v_fmac_f64_e32 v[84:85], v[12:13], v[14:15]
	ds_read_b64 v[12:13], v254 offset:112
	ds_read_b64 v[14:15], v254 offset:120
	s_waitcnt lgkmcnt(1)
	v_fmac_f64_e32 v[84:85], v[8:9], v[12:13]
	v_mul_f64 v[8:9], v[48:49], v[4:5]
	v_mul_f64 v[8:9], v[52:53], v[8:9]
	;; [unrolled: 1-line block ×4, first 2 shown]
	s_waitcnt lgkmcnt(0)
	v_fmac_f64_e32 v[84:85], v[12:13], v[14:15]
	ds_read_b64 v[14:15], v254 offset:128
	v_mul_f64 v[12:13], v[32:33], v[8:9]
	v_mul_f64 v[12:13], v[222:223], v[12:13]
	v_mul_f64 v[4:5], v[40:41], v[4:5]
	v_mul_f64 v[4:5], v[44:45], v[4:5]
	s_waitcnt lgkmcnt(0)
	v_fmac_f64_e32 v[84:85], v[12:13], v[14:15]
	ds_read_b64 v[14:15], v254 offset:136
	v_mul_f64 v[12:13], v[26:27], v[8:9]
	v_mul_f64 v[12:13], v[236:237], v[12:13]
	s_waitcnt lgkmcnt(0)
	v_fmac_f64_e32 v[84:85], v[12:13], v[14:15]
	ds_read_b64 v[14:15], v254 offset:144
	v_mul_f64 v[12:13], v[22:23], v[8:9]
	v_mul_f64 v[12:13], v[232:233], v[12:13]
	;; [unrolled: 1-line block ×4, first 2 shown]
	s_waitcnt lgkmcnt(0)
	v_fmac_f64_e32 v[84:85], v[12:13], v[14:15]
	ds_read_b64 v[12:13], v254 offset:152
	s_waitcnt lgkmcnt(0)
	v_fmac_f64_e32 v[84:85], v[8:9], v[12:13]
	ds_read_b64 v[12:13], v254 offset:160
	v_mul_f64 v[8:9], v[36:37], v[4:5]
	v_mul_f64 v[8:9], v[226:227], v[8:9]
	s_waitcnt lgkmcnt(0)
	v_fmac_f64_e32 v[84:85], v[8:9], v[12:13]
	ds_read_b64 v[12:13], v254 offset:168
	v_mul_f64 v[8:9], v[32:33], v[4:5]
	v_mul_f64 v[8:9], v[222:223], v[8:9]
	;; [unrolled: 5-line block ×4, first 2 shown]
	v_mul_f64 v[4:5], v[18:19], v[4:5]
	v_mul_f64 v[4:5], v[122:123], v[4:5]
	s_waitcnt lgkmcnt(0)
	v_fmac_f64_e32 v[84:85], v[8:9], v[12:13]
	ds_read_b64 v[8:9], v254 offset:192
	s_waitcnt lgkmcnt(0)
	v_fmac_f64_e32 v[84:85], v[4:5], v[8:9]
	v_mul_f64 v[4:5], v[6:7], v[10:11]
	ds_read_b64 v[10:11], v254 offset:200
	v_mul_f64 v[6:7], v[74:75], v[4:5]
	v_mul_f64 v[6:7], v[78:79], v[6:7]
	v_mul_f64 v[8:9], v[36:37], v[6:7]
	v_mul_f64 v[8:9], v[226:227], v[8:9]
	s_waitcnt lgkmcnt(0)
	v_fmac_f64_e32 v[84:85], v[10:11], v[8:9]
	ds_read_b64 v[10:11], v254 offset:208
	v_mul_f64 v[8:9], v[32:33], v[6:7]
	v_mul_f64 v[8:9], v[222:223], v[8:9]
	s_waitcnt lgkmcnt(0)
	v_fmac_f64_e32 v[84:85], v[10:11], v[8:9]
	ds_read_b64 v[10:11], v254 offset:216
	v_mul_f64 v[8:9], v[26:27], v[6:7]
	v_mul_f64 v[8:9], v[236:237], v[8:9]
	s_waitcnt lgkmcnt(0)
	v_fmac_f64_e32 v[84:85], v[10:11], v[8:9]
	ds_read_b64 v[10:11], v254 offset:224
	v_mul_f64 v[8:9], v[22:23], v[6:7]
	v_mul_f64 v[8:9], v[232:233], v[8:9]
	v_mul_f64 v[6:7], v[18:19], v[6:7]
	v_mul_f64 v[6:7], v[122:123], v[6:7]
	s_waitcnt lgkmcnt(0)
	v_fmac_f64_e32 v[84:85], v[10:11], v[8:9]
	ds_read_b64 v[8:9], v254 offset:232
	ds_read_b64 v[10:11], v254 offset:240
	s_waitcnt lgkmcnt(1)
	v_fmac_f64_e32 v[84:85], v[6:7], v[8:9]
	v_mul_f64 v[6:7], v[66:67], v[4:5]
	v_mul_f64 v[6:7], v[70:71], v[6:7]
	v_mul_f64 v[8:9], v[36:37], v[6:7]
	v_mul_f64 v[8:9], v[226:227], v[8:9]
	s_waitcnt lgkmcnt(0)
	v_fmac_f64_e32 v[84:85], v[8:9], v[10:11]
	ds_read_b64 v[10:11], v254 offset:248
	v_mul_f64 v[8:9], v[32:33], v[6:7]
	v_mul_f64 v[8:9], v[222:223], v[8:9]
	s_waitcnt lgkmcnt(0)
	v_fmac_f64_e32 v[84:85], v[8:9], v[10:11]
	ds_read_b64 v[10:11], v254 offset:256
	v_mul_f64 v[8:9], v[26:27], v[6:7]
	v_mul_f64 v[8:9], v[236:237], v[8:9]
	s_waitcnt lgkmcnt(0)
	v_fmac_f64_e32 v[84:85], v[8:9], v[10:11]
	ds_read_b64 v[10:11], v254 offset:264
	v_mul_f64 v[8:9], v[22:23], v[6:7]
	v_mul_f64 v[8:9], v[232:233], v[8:9]
	v_mul_f64 v[6:7], v[18:19], v[6:7]
	v_mul_f64 v[6:7], v[122:123], v[6:7]
	s_waitcnt lgkmcnt(0)
	v_fmac_f64_e32 v[84:85], v[8:9], v[10:11]
	ds_read_b64 v[8:9], v254 offset:272
	ds_read_b64 v[10:11], v254 offset:280
	s_waitcnt lgkmcnt(1)
	v_fmac_f64_e32 v[84:85], v[6:7], v[8:9]
	v_mul_f64 v[6:7], v[56:57], v[4:5]
	v_mul_f64 v[6:7], v[62:63], v[6:7]
	v_mul_f64 v[8:9], v[36:37], v[6:7]
	v_mul_f64 v[8:9], v[226:227], v[8:9]
	s_waitcnt lgkmcnt(0)
	v_fmac_f64_e32 v[84:85], v[8:9], v[10:11]
	ds_read_b64 v[10:11], v254 offset:288
	v_mul_f64 v[8:9], v[32:33], v[6:7]
	v_mul_f64 v[8:9], v[222:223], v[8:9]
	s_waitcnt lgkmcnt(0)
	v_fmac_f64_e32 v[84:85], v[8:9], v[10:11]
	ds_read_b64 v[10:11], v254 offset:296
	v_mul_f64 v[8:9], v[26:27], v[6:7]
	v_mul_f64 v[8:9], v[236:237], v[8:9]
	s_waitcnt lgkmcnt(0)
	v_fmac_f64_e32 v[84:85], v[8:9], v[10:11]
	ds_read_b64 v[10:11], v254 offset:304
	v_mul_f64 v[8:9], v[22:23], v[6:7]
	v_mul_f64 v[8:9], v[232:233], v[8:9]
	v_mul_f64 v[6:7], v[18:19], v[6:7]
	v_mul_f64 v[6:7], v[122:123], v[6:7]
	s_waitcnt lgkmcnt(0)
	v_fmac_f64_e32 v[84:85], v[8:9], v[10:11]
	ds_read_b64 v[8:9], v254 offset:312
	ds_read_b64 v[10:11], v254 offset:320
	s_waitcnt lgkmcnt(1)
	v_fmac_f64_e32 v[84:85], v[6:7], v[8:9]
	v_mul_f64 v[6:7], v[48:49], v[4:5]
	v_mul_f64 v[6:7], v[52:53], v[6:7]
	;; [unrolled: 1-line block ×4, first 2 shown]
	s_waitcnt lgkmcnt(0)
	v_fmac_f64_e32 v[84:85], v[8:9], v[10:11]
	ds_read_b64 v[10:11], v254 offset:328
	v_mul_f64 v[8:9], v[32:33], v[6:7]
	v_mul_f64 v[8:9], v[222:223], v[8:9]
	;; [unrolled: 1-line block ×4, first 2 shown]
	s_waitcnt lgkmcnt(0)
	v_fmac_f64_e32 v[84:85], v[8:9], v[10:11]
	ds_read_b64 v[10:11], v254 offset:336
	v_mul_f64 v[8:9], v[26:27], v[6:7]
	v_mul_f64 v[8:9], v[236:237], v[8:9]
	s_waitcnt lgkmcnt(0)
	v_fmac_f64_e32 v[84:85], v[8:9], v[10:11]
	ds_read_b64 v[10:11], v254 offset:344
	v_mul_f64 v[8:9], v[22:23], v[6:7]
	v_mul_f64 v[8:9], v[232:233], v[8:9]
	;; [unrolled: 1-line block ×4, first 2 shown]
	s_waitcnt lgkmcnt(0)
	v_fmac_f64_e32 v[84:85], v[8:9], v[10:11]
	ds_read_b64 v[8:9], v254 offset:352
	s_waitcnt lgkmcnt(0)
	v_fmac_f64_e32 v[84:85], v[6:7], v[8:9]
	ds_read_b64 v[8:9], v254 offset:360
	v_mul_f64 v[6:7], v[36:37], v[4:5]
	v_mul_f64 v[6:7], v[226:227], v[6:7]
	s_waitcnt lgkmcnt(0)
	v_fmac_f64_e32 v[84:85], v[6:7], v[8:9]
	ds_read_b64 v[8:9], v254 offset:368
	v_mul_f64 v[6:7], v[32:33], v[4:5]
	v_mul_f64 v[6:7], v[222:223], v[6:7]
	s_waitcnt lgkmcnt(0)
	v_fmac_f64_e32 v[84:85], v[6:7], v[8:9]
	ds_read_b64 v[8:9], v254 offset:376
	v_mul_f64 v[6:7], v[26:27], v[4:5]
	v_mul_f64 v[6:7], v[236:237], v[6:7]
	s_waitcnt lgkmcnt(0)
	v_fmac_f64_e32 v[84:85], v[6:7], v[8:9]
	ds_read_b64 v[8:9], v254 offset:384
	v_mul_f64 v[6:7], v[22:23], v[4:5]
	v_mul_f64 v[6:7], v[232:233], v[6:7]
	v_mul_f64 v[4:5], v[18:19], v[4:5]
	v_mul_f64 v[4:5], v[122:123], v[4:5]
	s_waitcnt lgkmcnt(0)
	v_fmac_f64_e32 v[84:85], v[6:7], v[8:9]
	ds_read_b64 v[6:7], v254 offset:392
	s_waitcnt lgkmcnt(0)
	v_fmac_f64_e32 v[84:85], v[4:5], v[6:7]
	ds_read_b64 v[4:5], v126 offset:64
	ds_read_b64 v[6:7], v255 offset:64
	;; [unrolled: 1-line block ×3, first 2 shown]
	s_waitcnt lgkmcnt(1)
	v_mul_f64 v[4:5], v[4:5], v[6:7]
	v_mul_f64 v[6:7], v[74:75], v[4:5]
	;; [unrolled: 1-line block ×5, first 2 shown]
	s_waitcnt lgkmcnt(0)
	v_fmac_f64_e32 v[84:85], v[10:11], v[8:9]
	ds_read_b64 v[10:11], v254 offset:408
	v_mul_f64 v[8:9], v[32:33], v[6:7]
	v_mul_f64 v[8:9], v[222:223], v[8:9]
	s_waitcnt lgkmcnt(0)
	v_fmac_f64_e32 v[84:85], v[10:11], v[8:9]
	ds_read_b64 v[10:11], v254 offset:416
	v_mul_f64 v[8:9], v[26:27], v[6:7]
	v_mul_f64 v[8:9], v[236:237], v[8:9]
	s_waitcnt lgkmcnt(0)
	v_fmac_f64_e32 v[84:85], v[10:11], v[8:9]
	ds_read_b64 v[10:11], v254 offset:424
	v_mul_f64 v[8:9], v[22:23], v[6:7]
	v_mul_f64 v[8:9], v[232:233], v[8:9]
	v_mul_f64 v[6:7], v[18:19], v[6:7]
	v_mul_f64 v[6:7], v[122:123], v[6:7]
	s_waitcnt lgkmcnt(0)
	v_fmac_f64_e32 v[84:85], v[10:11], v[8:9]
	ds_read_b64 v[8:9], v254 offset:432
	ds_read_b64 v[10:11], v254 offset:440
	s_waitcnt lgkmcnt(1)
	v_fmac_f64_e32 v[84:85], v[6:7], v[8:9]
	v_mul_f64 v[6:7], v[66:67], v[4:5]
	v_mul_f64 v[6:7], v[70:71], v[6:7]
	v_mul_f64 v[8:9], v[36:37], v[6:7]
	v_mul_f64 v[8:9], v[226:227], v[8:9]
	s_waitcnt lgkmcnt(0)
	v_fmac_f64_e32 v[84:85], v[8:9], v[10:11]
	ds_read_b64 v[10:11], v254 offset:448
	v_mul_f64 v[8:9], v[32:33], v[6:7]
	v_mul_f64 v[8:9], v[222:223], v[8:9]
	s_waitcnt lgkmcnt(0)
	v_fmac_f64_e32 v[84:85], v[8:9], v[10:11]
	ds_read_b64 v[10:11], v254 offset:456
	v_mul_f64 v[8:9], v[26:27], v[6:7]
	v_mul_f64 v[8:9], v[236:237], v[8:9]
	s_waitcnt lgkmcnt(0)
	v_fmac_f64_e32 v[84:85], v[8:9], v[10:11]
	ds_read_b64 v[10:11], v254 offset:464
	v_mul_f64 v[8:9], v[22:23], v[6:7]
	v_mul_f64 v[8:9], v[232:233], v[8:9]
	v_mul_f64 v[6:7], v[18:19], v[6:7]
	v_mul_f64 v[6:7], v[122:123], v[6:7]
	s_waitcnt lgkmcnt(0)
	v_fmac_f64_e32 v[84:85], v[8:9], v[10:11]
	ds_read_b64 v[8:9], v254 offset:472
	ds_read_b64 v[10:11], v254 offset:480
	s_waitcnt lgkmcnt(1)
	v_fmac_f64_e32 v[84:85], v[6:7], v[8:9]
	v_mul_f64 v[6:7], v[56:57], v[4:5]
	v_mul_f64 v[6:7], v[62:63], v[6:7]
	v_mul_f64 v[8:9], v[36:37], v[6:7]
	v_mul_f64 v[8:9], v[226:227], v[8:9]
	s_waitcnt lgkmcnt(0)
	v_fmac_f64_e32 v[84:85], v[8:9], v[10:11]
	ds_read_b64 v[10:11], v254 offset:488
	v_mul_f64 v[8:9], v[32:33], v[6:7]
	v_mul_f64 v[8:9], v[222:223], v[8:9]
	s_waitcnt lgkmcnt(0)
	v_fmac_f64_e32 v[84:85], v[8:9], v[10:11]
	ds_read_b64 v[10:11], v254 offset:496
	v_mul_f64 v[8:9], v[26:27], v[6:7]
	v_mul_f64 v[8:9], v[236:237], v[8:9]
	s_waitcnt lgkmcnt(0)
	v_fmac_f64_e32 v[84:85], v[8:9], v[10:11]
	ds_read_b64 v[10:11], v254 offset:504
	v_mul_f64 v[8:9], v[22:23], v[6:7]
	v_mul_f64 v[8:9], v[232:233], v[8:9]
	v_mul_f64 v[6:7], v[18:19], v[6:7]
	v_mul_f64 v[6:7], v[122:123], v[6:7]
	s_waitcnt lgkmcnt(0)
	v_fmac_f64_e32 v[84:85], v[8:9], v[10:11]
	ds_read_b64 v[8:9], v254 offset:512
	ds_read_b64 v[10:11], v254 offset:520
	s_waitcnt lgkmcnt(1)
	v_fmac_f64_e32 v[84:85], v[6:7], v[8:9]
	v_mul_f64 v[6:7], v[48:49], v[4:5]
	v_mul_f64 v[6:7], v[52:53], v[6:7]
	v_mul_f64 v[8:9], v[36:37], v[6:7]
	v_mul_f64 v[8:9], v[226:227], v[8:9]
	s_waitcnt lgkmcnt(0)
	v_fmac_f64_e32 v[84:85], v[8:9], v[10:11]
	ds_read_b64 v[10:11], v254 offset:528
	v_mul_f64 v[8:9], v[32:33], v[6:7]
	v_mul_f64 v[8:9], v[222:223], v[8:9]
	;; [unrolled: 1-line block ×4, first 2 shown]
	s_waitcnt lgkmcnt(0)
	v_fmac_f64_e32 v[84:85], v[8:9], v[10:11]
	ds_read_b64 v[10:11], v254 offset:536
	v_mul_f64 v[8:9], v[26:27], v[6:7]
	v_mul_f64 v[8:9], v[236:237], v[8:9]
	s_waitcnt lgkmcnt(0)
	v_fmac_f64_e32 v[84:85], v[8:9], v[10:11]
	ds_read_b64 v[10:11], v254 offset:544
	v_mul_f64 v[8:9], v[22:23], v[6:7]
	v_mul_f64 v[8:9], v[232:233], v[8:9]
	;; [unrolled: 1-line block ×4, first 2 shown]
	s_waitcnt lgkmcnt(0)
	v_fmac_f64_e32 v[84:85], v[8:9], v[10:11]
	ds_read_b64 v[8:9], v254 offset:552
	s_waitcnt lgkmcnt(0)
	v_fmac_f64_e32 v[84:85], v[6:7], v[8:9]
	ds_read_b64 v[8:9], v254 offset:560
	v_mul_f64 v[6:7], v[36:37], v[4:5]
	v_mul_f64 v[6:7], v[226:227], v[6:7]
	s_waitcnt lgkmcnt(0)
	v_fmac_f64_e32 v[84:85], v[6:7], v[8:9]
	ds_read_b64 v[8:9], v254 offset:568
	v_mul_f64 v[6:7], v[32:33], v[4:5]
	v_mul_f64 v[6:7], v[222:223], v[6:7]
	;; [unrolled: 5-line block ×4, first 2 shown]
	v_mul_f64 v[4:5], v[18:19], v[4:5]
	v_mul_f64 v[4:5], v[122:123], v[4:5]
	s_waitcnt lgkmcnt(0)
	v_fmac_f64_e32 v[84:85], v[6:7], v[8:9]
	ds_read_b64 v[6:7], v254 offset:592
	s_waitcnt lgkmcnt(0)
	v_fmac_f64_e32 v[84:85], v[4:5], v[6:7]
	ds_read_b64 v[4:5], v126 offset:96
	ds_read_b64 v[6:7], v255 offset:96
	;; [unrolled: 1-line block ×3, first 2 shown]
	s_waitcnt lgkmcnt(1)
	v_mul_f64 v[4:5], v[4:5], v[6:7]
	v_mul_f64 v[6:7], v[74:75], v[4:5]
	;; [unrolled: 1-line block ×5, first 2 shown]
	s_waitcnt lgkmcnt(0)
	v_fmac_f64_e32 v[84:85], v[10:11], v[8:9]
	ds_read_b64 v[10:11], v254 offset:608
	v_mul_f64 v[8:9], v[32:33], v[6:7]
	v_mul_f64 v[8:9], v[222:223], v[8:9]
	s_waitcnt lgkmcnt(0)
	v_fmac_f64_e32 v[84:85], v[10:11], v[8:9]
	ds_read_b64 v[10:11], v254 offset:616
	v_mul_f64 v[8:9], v[26:27], v[6:7]
	v_mul_f64 v[8:9], v[236:237], v[8:9]
	s_waitcnt lgkmcnt(0)
	v_fmac_f64_e32 v[84:85], v[10:11], v[8:9]
	ds_read_b64 v[10:11], v254 offset:624
	v_mul_f64 v[8:9], v[22:23], v[6:7]
	v_mul_f64 v[8:9], v[232:233], v[8:9]
	v_mul_f64 v[6:7], v[18:19], v[6:7]
	v_mul_f64 v[6:7], v[122:123], v[6:7]
	s_waitcnt lgkmcnt(0)
	v_fmac_f64_e32 v[84:85], v[10:11], v[8:9]
	ds_read_b64 v[8:9], v254 offset:632
	ds_read_b64 v[10:11], v254 offset:640
	s_waitcnt lgkmcnt(1)
	v_fmac_f64_e32 v[84:85], v[6:7], v[8:9]
	v_mul_f64 v[6:7], v[66:67], v[4:5]
	v_mul_f64 v[6:7], v[70:71], v[6:7]
	v_mul_f64 v[8:9], v[36:37], v[6:7]
	v_mul_f64 v[8:9], v[226:227], v[8:9]
	s_waitcnt lgkmcnt(0)
	v_fmac_f64_e32 v[84:85], v[8:9], v[10:11]
	ds_read_b64 v[10:11], v254 offset:648
	v_mul_f64 v[8:9], v[32:33], v[6:7]
	v_mul_f64 v[8:9], v[222:223], v[8:9]
	s_waitcnt lgkmcnt(0)
	v_fmac_f64_e32 v[84:85], v[8:9], v[10:11]
	ds_read_b64 v[10:11], v254 offset:656
	v_mul_f64 v[8:9], v[26:27], v[6:7]
	v_mul_f64 v[8:9], v[236:237], v[8:9]
	s_waitcnt lgkmcnt(0)
	v_fmac_f64_e32 v[84:85], v[8:9], v[10:11]
	ds_read_b64 v[10:11], v254 offset:664
	v_mul_f64 v[8:9], v[22:23], v[6:7]
	v_mul_f64 v[8:9], v[232:233], v[8:9]
	v_mul_f64 v[6:7], v[18:19], v[6:7]
	v_mul_f64 v[6:7], v[122:123], v[6:7]
	s_waitcnt lgkmcnt(0)
	v_fmac_f64_e32 v[84:85], v[8:9], v[10:11]
	ds_read_b64 v[8:9], v254 offset:672
	ds_read_b64 v[10:11], v254 offset:680
	s_waitcnt lgkmcnt(1)
	v_fmac_f64_e32 v[84:85], v[6:7], v[8:9]
	v_mul_f64 v[6:7], v[56:57], v[4:5]
	v_mul_f64 v[6:7], v[62:63], v[6:7]
	v_mul_f64 v[8:9], v[36:37], v[6:7]
	v_mul_f64 v[8:9], v[226:227], v[8:9]
	;; [unrolled: 27-line block ×3, first 2 shown]
	s_waitcnt lgkmcnt(0)
	v_fmac_f64_e32 v[84:85], v[8:9], v[10:11]
	ds_read_b64 v[10:11], v254 offset:728
	v_mul_f64 v[8:9], v[32:33], v[6:7]
	v_mul_f64 v[8:9], v[222:223], v[8:9]
	;; [unrolled: 1-line block ×4, first 2 shown]
	s_waitcnt lgkmcnt(0)
	v_fmac_f64_e32 v[84:85], v[8:9], v[10:11]
	ds_read_b64 v[10:11], v254 offset:736
	v_mul_f64 v[8:9], v[26:27], v[6:7]
	v_mul_f64 v[8:9], v[236:237], v[8:9]
	s_waitcnt lgkmcnt(0)
	v_fmac_f64_e32 v[84:85], v[8:9], v[10:11]
	ds_read_b64 v[10:11], v254 offset:744
	v_mul_f64 v[8:9], v[22:23], v[6:7]
	v_mul_f64 v[8:9], v[232:233], v[8:9]
	;; [unrolled: 1-line block ×4, first 2 shown]
	s_waitcnt lgkmcnt(0)
	v_fmac_f64_e32 v[84:85], v[8:9], v[10:11]
	ds_read_b64 v[8:9], v254 offset:752
	s_waitcnt lgkmcnt(0)
	v_fmac_f64_e32 v[84:85], v[6:7], v[8:9]
	ds_read_b64 v[8:9], v254 offset:760
	v_mul_f64 v[6:7], v[36:37], v[4:5]
	v_mul_f64 v[6:7], v[226:227], v[6:7]
	s_waitcnt lgkmcnt(0)
	v_fmac_f64_e32 v[84:85], v[6:7], v[8:9]
	ds_read_b64 v[8:9], v254 offset:768
	v_mul_f64 v[6:7], v[32:33], v[4:5]
	v_mul_f64 v[6:7], v[222:223], v[6:7]
	;; [unrolled: 5-line block ×4, first 2 shown]
	v_mul_f64 v[4:5], v[18:19], v[4:5]
	v_mul_f64 v[4:5], v[122:123], v[4:5]
	s_waitcnt lgkmcnt(0)
	v_fmac_f64_e32 v[84:85], v[6:7], v[8:9]
	ds_read_b64 v[6:7], v254 offset:792
	s_waitcnt lgkmcnt(0)
	v_fmac_f64_e32 v[84:85], v[4:5], v[6:7]
	ds_read_b64 v[4:5], v126 offset:128
	ds_read_b64 v[6:7], v255 offset:128
	ds_read_b64 v[10:11], v254 offset:800
	s_waitcnt lgkmcnt(1)
	v_mul_f64 v[4:5], v[4:5], v[6:7]
	v_mul_f64 v[6:7], v[74:75], v[4:5]
	;; [unrolled: 1-line block ×5, first 2 shown]
	s_waitcnt lgkmcnt(0)
	v_fmac_f64_e32 v[84:85], v[10:11], v[8:9]
	ds_read_b64 v[10:11], v254 offset:808
	v_mul_f64 v[8:9], v[32:33], v[6:7]
	v_mul_f64 v[8:9], v[222:223], v[8:9]
	s_waitcnt lgkmcnt(0)
	v_fmac_f64_e32 v[84:85], v[10:11], v[8:9]
	ds_read_b64 v[10:11], v254 offset:816
	v_mul_f64 v[8:9], v[26:27], v[6:7]
	v_mul_f64 v[8:9], v[236:237], v[8:9]
	s_waitcnt lgkmcnt(0)
	v_fmac_f64_e32 v[84:85], v[10:11], v[8:9]
	ds_read_b64 v[10:11], v254 offset:824
	v_mul_f64 v[8:9], v[22:23], v[6:7]
	v_mul_f64 v[8:9], v[232:233], v[8:9]
	v_mul_f64 v[6:7], v[18:19], v[6:7]
	v_mul_f64 v[6:7], v[122:123], v[6:7]
	s_waitcnt lgkmcnt(0)
	v_fmac_f64_e32 v[84:85], v[10:11], v[8:9]
	ds_read_b64 v[8:9], v254 offset:832
	ds_read_b64 v[10:11], v254 offset:840
	s_waitcnt lgkmcnt(1)
	v_fmac_f64_e32 v[84:85], v[6:7], v[8:9]
	v_mul_f64 v[6:7], v[66:67], v[4:5]
	v_mul_f64 v[6:7], v[70:71], v[6:7]
	v_mul_f64 v[8:9], v[36:37], v[6:7]
	v_mul_f64 v[8:9], v[226:227], v[8:9]
	s_waitcnt lgkmcnt(0)
	v_fmac_f64_e32 v[84:85], v[8:9], v[10:11]
	ds_read_b64 v[10:11], v254 offset:848
	v_mul_f64 v[8:9], v[32:33], v[6:7]
	v_mul_f64 v[8:9], v[222:223], v[8:9]
	s_waitcnt lgkmcnt(0)
	v_fmac_f64_e32 v[84:85], v[8:9], v[10:11]
	ds_read_b64 v[10:11], v254 offset:856
	v_mul_f64 v[8:9], v[26:27], v[6:7]
	v_mul_f64 v[8:9], v[236:237], v[8:9]
	s_waitcnt lgkmcnt(0)
	v_fmac_f64_e32 v[84:85], v[8:9], v[10:11]
	ds_read_b64 v[10:11], v254 offset:864
	v_mul_f64 v[8:9], v[22:23], v[6:7]
	v_mul_f64 v[8:9], v[232:233], v[8:9]
	v_mul_f64 v[6:7], v[18:19], v[6:7]
	v_mul_f64 v[6:7], v[122:123], v[6:7]
	s_waitcnt lgkmcnt(0)
	v_fmac_f64_e32 v[84:85], v[8:9], v[10:11]
	ds_read_b64 v[8:9], v254 offset:872
	ds_read_b64 v[10:11], v254 offset:880
	s_waitcnt lgkmcnt(1)
	v_fmac_f64_e32 v[84:85], v[6:7], v[8:9]
	v_mul_f64 v[6:7], v[56:57], v[4:5]
	v_mul_f64 v[6:7], v[62:63], v[6:7]
	v_mul_f64 v[8:9], v[36:37], v[6:7]
	v_mul_f64 v[8:9], v[226:227], v[8:9]
	;; [unrolled: 27-line block ×3, first 2 shown]
	s_waitcnt lgkmcnt(0)
	v_fmac_f64_e32 v[84:85], v[8:9], v[10:11]
	ds_read_b64 v[10:11], v254 offset:928
	v_mul_f64 v[8:9], v[32:33], v[6:7]
	v_mul_f64 v[8:9], v[222:223], v[8:9]
	v_mul_f64 v[4:5], v[40:41], v[4:5]
	v_mul_f64 v[4:5], v[44:45], v[4:5]
	s_waitcnt lgkmcnt(0)
	v_fmac_f64_e32 v[84:85], v[8:9], v[10:11]
	ds_read_b64 v[10:11], v254 offset:936
	v_mul_f64 v[8:9], v[26:27], v[6:7]
	v_mul_f64 v[8:9], v[236:237], v[8:9]
	s_waitcnt lgkmcnt(0)
	v_fmac_f64_e32 v[84:85], v[8:9], v[10:11]
	ds_read_b64 v[10:11], v254 offset:944
	v_mul_f64 v[8:9], v[22:23], v[6:7]
	v_mul_f64 v[8:9], v[232:233], v[8:9]
	;; [unrolled: 1-line block ×4, first 2 shown]
	s_waitcnt lgkmcnt(0)
	v_fmac_f64_e32 v[84:85], v[8:9], v[10:11]
	ds_read_b64 v[8:9], v254 offset:952
	s_waitcnt lgkmcnt(0)
	v_fmac_f64_e32 v[84:85], v[6:7], v[8:9]
	ds_read_b64 v[8:9], v254 offset:960
	v_mul_f64 v[6:7], v[36:37], v[4:5]
	v_mul_f64 v[6:7], v[226:227], v[6:7]
	s_waitcnt lgkmcnt(0)
	v_fmac_f64_e32 v[84:85], v[6:7], v[8:9]
	ds_read_b64 v[8:9], v254 offset:968
	v_mul_f64 v[6:7], v[32:33], v[4:5]
	v_mul_f64 v[6:7], v[222:223], v[6:7]
	;; [unrolled: 5-line block ×4, first 2 shown]
	v_mul_f64 v[4:5], v[18:19], v[4:5]
	v_mul_f64 v[4:5], v[122:123], v[4:5]
	s_waitcnt lgkmcnt(0)
	v_fmac_f64_e32 v[84:85], v[6:7], v[8:9]
	ds_read_b64 v[6:7], v254 offset:992
	s_waitcnt lgkmcnt(0)
	v_fmac_f64_e32 v[84:85], v[4:5], v[6:7]
	global_store_dwordx2 v[94:95], v[84:85], off offset:2048
	ds_read_b64 v[36:37], v125
	ds_read_b64 v[32:33], v125 offset:32
	ds_read2_b64 v[190:193], v254 offset0:129 offset1:130
	ds_read_b64 v[26:27], v125 offset:64
	ds_read2_b64 v[200:203], v254 offset0:133 offset1:134
	;; [unrolled: 2-line block ×4, first 2 shown]
	ds_read_b64 v[10:11], v124
	ds_read2_b64 v[92:95], v254 offset0:127 offset1:128
	ds_read_b64 v[8:9], v124 offset:32
	ds_read2_b64 v[104:107], v254 offset0:131 offset1:132
	ds_read_b64 v[6:7], v124 offset:64
	;; [unrolled: 2-line block ×4, first 2 shown]
	ds_read2_b64 v[110:113], v254 offset0:143 offset1:144
	ds_read_b64 v[12:13], v126
	ds_read_b64 v[14:15], v126 offset:32
	ds_read_b64 v[28:29], v255
	ds_read_b64 v[30:31], v255 offset:32
	;; [unrolled: 2-line block ×3, first 2 shown]
	ds_read_b64 v[56:57], v254 offset:16
	ds_read_b64 v[62:63], v254 offset:24
	;; [unrolled: 1-line block ×6, first 2 shown]
	s_waitcnt lgkmcnt(9)
	v_mul_f64 v[12:13], v[12:13], v[28:29]
	v_mul_f64 v[28:29], v[10:11], v[12:13]
	;; [unrolled: 1-line block ×5, first 2 shown]
	s_waitcnt lgkmcnt(7)
	v_fma_f64 v[40:41], v[48:49], v[40:41], 0
	v_mul_f64 v[48:49], v[32:33], v[28:29]
	v_mul_f64 v[48:49], v[192:193], v[48:49]
	s_waitcnt lgkmcnt(6)
	v_fmac_f64_e32 v[40:41], v[52:53], v[48:49]
	v_mul_f64 v[48:49], v[26:27], v[28:29]
	v_mul_f64 v[48:49], v[202:203], v[48:49]
	s_waitcnt lgkmcnt(5)
	v_fmac_f64_e32 v[40:41], v[56:57], v[48:49]
	v_mul_f64 v[48:49], v[22:23], v[28:29]
	v_mul_f64 v[48:49], v[198:199], v[48:49]
	;; [unrolled: 1-line block ×3, first 2 shown]
	s_waitcnt lgkmcnt(4)
	v_fmac_f64_e32 v[40:41], v[62:63], v[48:49]
	v_mul_f64 v[28:29], v[206:207], v[28:29]
	s_waitcnt lgkmcnt(3)
	v_fmac_f64_e32 v[40:41], v[28:29], v[66:67]
	v_mul_f64 v[28:29], v[8:9], v[12:13]
	v_mul_f64 v[28:29], v[106:107], v[28:29]
	;; [unrolled: 1-line block ×4, first 2 shown]
	s_waitcnt lgkmcnt(2)
	v_fmac_f64_e32 v[40:41], v[48:49], v[70:71]
	v_mul_f64 v[48:49], v[32:33], v[28:29]
	v_mul_f64 v[48:49], v[192:193], v[48:49]
	ds_read_b64 v[52:53], v254 offset:64
	s_waitcnt lgkmcnt(2)
	v_fmac_f64_e32 v[40:41], v[48:49], v[74:75]
	v_mul_f64 v[48:49], v[26:27], v[28:29]
	v_mul_f64 v[48:49], v[202:203], v[48:49]
	s_waitcnt lgkmcnt(1)
	v_fmac_f64_e32 v[40:41], v[48:49], v[78:79]
	v_mul_f64 v[48:49], v[22:23], v[28:29]
	v_mul_f64 v[48:49], v[198:199], v[48:49]
	s_waitcnt lgkmcnt(0)
	v_fmac_f64_e32 v[40:41], v[48:49], v[52:53]
	ds_read_b64 v[48:49], v254 offset:72
	ds_read_b64 v[52:53], v254 offset:80
	v_mul_f64 v[28:29], v[18:19], v[28:29]
	v_mul_f64 v[28:29], v[206:207], v[28:29]
	s_waitcnt lgkmcnt(1)
	v_fmac_f64_e32 v[40:41], v[28:29], v[48:49]
	v_mul_f64 v[28:29], v[6:7], v[12:13]
	v_mul_f64 v[28:29], v[102:103], v[28:29]
	;; [unrolled: 1-line block ×4, first 2 shown]
	s_waitcnt lgkmcnt(0)
	v_fmac_f64_e32 v[40:41], v[48:49], v[52:53]
	ds_read_b64 v[52:53], v254 offset:88
	v_mul_f64 v[48:49], v[32:33], v[28:29]
	v_mul_f64 v[48:49], v[192:193], v[48:49]
	s_waitcnt lgkmcnt(0)
	v_fmac_f64_e32 v[40:41], v[48:49], v[52:53]
	ds_read_b64 v[52:53], v254 offset:96
	v_mul_f64 v[48:49], v[26:27], v[28:29]
	v_mul_f64 v[48:49], v[202:203], v[48:49]
	;; [unrolled: 5-line block ×3, first 2 shown]
	v_mul_f64 v[28:29], v[18:19], v[28:29]
	v_mul_f64 v[28:29], v[206:207], v[28:29]
	s_waitcnt lgkmcnt(0)
	v_fmac_f64_e32 v[40:41], v[48:49], v[52:53]
	ds_read_b64 v[48:49], v254 offset:112
	ds_read_b64 v[52:53], v254 offset:120
	s_waitcnt lgkmcnt(1)
	v_fmac_f64_e32 v[40:41], v[28:29], v[48:49]
	v_mul_f64 v[28:29], v[4:5], v[12:13]
	v_mul_f64 v[28:29], v[116:117], v[28:29]
	v_mul_f64 v[48:49], v[36:37], v[28:29]
	v_mul_f64 v[48:49], v[210:211], v[48:49]
	s_waitcnt lgkmcnt(0)
	v_fmac_f64_e32 v[40:41], v[48:49], v[52:53]
	ds_read_b64 v[52:53], v254 offset:128
	v_mul_f64 v[48:49], v[32:33], v[28:29]
	v_mul_f64 v[48:49], v[192:193], v[48:49]
	;; [unrolled: 1-line block ×4, first 2 shown]
	s_waitcnt lgkmcnt(0)
	v_fmac_f64_e32 v[40:41], v[48:49], v[52:53]
	ds_read_b64 v[52:53], v254 offset:136
	v_mul_f64 v[48:49], v[26:27], v[28:29]
	v_mul_f64 v[48:49], v[202:203], v[48:49]
	s_waitcnt lgkmcnt(0)
	v_fmac_f64_e32 v[40:41], v[48:49], v[52:53]
	ds_read_b64 v[52:53], v254 offset:144
	v_mul_f64 v[48:49], v[22:23], v[28:29]
	v_mul_f64 v[48:49], v[198:199], v[48:49]
	;; [unrolled: 1-line block ×4, first 2 shown]
	s_waitcnt lgkmcnt(0)
	v_fmac_f64_e32 v[40:41], v[48:49], v[52:53]
	ds_read_b64 v[48:49], v254 offset:152
	s_waitcnt lgkmcnt(0)
	v_fmac_f64_e32 v[40:41], v[28:29], v[48:49]
	ds_read_b64 v[48:49], v254 offset:160
	v_mul_f64 v[28:29], v[36:37], v[12:13]
	v_mul_f64 v[28:29], v[210:211], v[28:29]
	s_waitcnt lgkmcnt(0)
	v_fmac_f64_e32 v[40:41], v[28:29], v[48:49]
	ds_read_b64 v[48:49], v254 offset:168
	v_mul_f64 v[28:29], v[32:33], v[12:13]
	v_mul_f64 v[28:29], v[192:193], v[28:29]
	;; [unrolled: 5-line block ×4, first 2 shown]
	v_mul_f64 v[12:13], v[18:19], v[12:13]
	v_mul_f64 v[12:13], v[206:207], v[12:13]
	s_waitcnt lgkmcnt(0)
	v_fmac_f64_e32 v[40:41], v[28:29], v[48:49]
	ds_read_b64 v[28:29], v254 offset:192
	s_waitcnt lgkmcnt(0)
	v_fmac_f64_e32 v[40:41], v[12:13], v[28:29]
	v_mul_f64 v[12:13], v[14:15], v[30:31]
	ds_read_b64 v[30:31], v254 offset:200
	v_mul_f64 v[14:15], v[10:11], v[12:13]
	v_mul_f64 v[14:15], v[94:95], v[14:15]
	v_mul_f64 v[28:29], v[36:37], v[14:15]
	v_mul_f64 v[28:29], v[210:211], v[28:29]
	s_waitcnt lgkmcnt(0)
	v_fmac_f64_e32 v[40:41], v[30:31], v[28:29]
	ds_read_b64 v[30:31], v254 offset:208
	v_mul_f64 v[28:29], v[32:33], v[14:15]
	v_mul_f64 v[28:29], v[192:193], v[28:29]
	s_waitcnt lgkmcnt(0)
	v_fmac_f64_e32 v[40:41], v[30:31], v[28:29]
	ds_read_b64 v[30:31], v254 offset:216
	v_mul_f64 v[28:29], v[26:27], v[14:15]
	v_mul_f64 v[28:29], v[202:203], v[28:29]
	s_waitcnt lgkmcnt(0)
	v_fmac_f64_e32 v[40:41], v[30:31], v[28:29]
	ds_read_b64 v[30:31], v254 offset:224
	v_mul_f64 v[28:29], v[22:23], v[14:15]
	v_mul_f64 v[28:29], v[198:199], v[28:29]
	v_mul_f64 v[14:15], v[18:19], v[14:15]
	v_mul_f64 v[14:15], v[206:207], v[14:15]
	s_waitcnt lgkmcnt(0)
	v_fmac_f64_e32 v[40:41], v[30:31], v[28:29]
	ds_read_b64 v[28:29], v254 offset:232
	ds_read_b64 v[30:31], v254 offset:240
	s_waitcnt lgkmcnt(1)
	v_fmac_f64_e32 v[40:41], v[14:15], v[28:29]
	v_mul_f64 v[14:15], v[8:9], v[12:13]
	v_mul_f64 v[14:15], v[106:107], v[14:15]
	v_mul_f64 v[28:29], v[36:37], v[14:15]
	v_mul_f64 v[28:29], v[210:211], v[28:29]
	s_waitcnt lgkmcnt(0)
	v_fmac_f64_e32 v[40:41], v[28:29], v[30:31]
	ds_read_b64 v[30:31], v254 offset:248
	v_mul_f64 v[28:29], v[32:33], v[14:15]
	v_mul_f64 v[28:29], v[192:193], v[28:29]
	s_waitcnt lgkmcnt(0)
	v_fmac_f64_e32 v[40:41], v[28:29], v[30:31]
	ds_read_b64 v[30:31], v254 offset:256
	v_mul_f64 v[28:29], v[26:27], v[14:15]
	v_mul_f64 v[28:29], v[202:203], v[28:29]
	s_waitcnt lgkmcnt(0)
	v_fmac_f64_e32 v[40:41], v[28:29], v[30:31]
	ds_read_b64 v[30:31], v254 offset:264
	v_mul_f64 v[28:29], v[22:23], v[14:15]
	v_mul_f64 v[28:29], v[198:199], v[28:29]
	v_mul_f64 v[14:15], v[18:19], v[14:15]
	v_mul_f64 v[14:15], v[206:207], v[14:15]
	s_waitcnt lgkmcnt(0)
	v_fmac_f64_e32 v[40:41], v[28:29], v[30:31]
	ds_read_b64 v[28:29], v254 offset:272
	ds_read_b64 v[30:31], v254 offset:280
	s_waitcnt lgkmcnt(1)
	v_fmac_f64_e32 v[40:41], v[14:15], v[28:29]
	;; [unrolled: 27-line block ×3, first 2 shown]
	v_mul_f64 v[14:15], v[4:5], v[12:13]
	v_mul_f64 v[14:15], v[116:117], v[14:15]
	;; [unrolled: 1-line block ×4, first 2 shown]
	s_waitcnt lgkmcnt(0)
	v_fmac_f64_e32 v[40:41], v[28:29], v[30:31]
	ds_read_b64 v[30:31], v254 offset:328
	v_mul_f64 v[28:29], v[32:33], v[14:15]
	v_mul_f64 v[28:29], v[192:193], v[28:29]
	v_mul_f64 v[12:13], v[44:45], v[12:13]
	v_mul_f64 v[12:13], v[112:113], v[12:13]
	s_waitcnt lgkmcnt(0)
	v_fmac_f64_e32 v[40:41], v[28:29], v[30:31]
	ds_read_b64 v[30:31], v254 offset:336
	v_mul_f64 v[28:29], v[26:27], v[14:15]
	v_mul_f64 v[28:29], v[202:203], v[28:29]
	s_waitcnt lgkmcnt(0)
	v_fmac_f64_e32 v[40:41], v[28:29], v[30:31]
	ds_read_b64 v[30:31], v254 offset:344
	v_mul_f64 v[28:29], v[22:23], v[14:15]
	v_mul_f64 v[28:29], v[198:199], v[28:29]
	;; [unrolled: 1-line block ×4, first 2 shown]
	s_waitcnt lgkmcnt(0)
	v_fmac_f64_e32 v[40:41], v[28:29], v[30:31]
	ds_read_b64 v[28:29], v254 offset:352
	s_waitcnt lgkmcnt(0)
	v_fmac_f64_e32 v[40:41], v[14:15], v[28:29]
	ds_read_b64 v[28:29], v254 offset:360
	v_mul_f64 v[14:15], v[36:37], v[12:13]
	v_mul_f64 v[14:15], v[210:211], v[14:15]
	s_waitcnt lgkmcnt(0)
	v_fmac_f64_e32 v[40:41], v[14:15], v[28:29]
	ds_read_b64 v[28:29], v254 offset:368
	v_mul_f64 v[14:15], v[32:33], v[12:13]
	v_mul_f64 v[14:15], v[192:193], v[14:15]
	s_waitcnt lgkmcnt(0)
	v_fmac_f64_e32 v[40:41], v[14:15], v[28:29]
	ds_read_b64 v[28:29], v254 offset:376
	v_mul_f64 v[14:15], v[26:27], v[12:13]
	v_mul_f64 v[14:15], v[202:203], v[14:15]
	s_waitcnt lgkmcnt(0)
	v_fmac_f64_e32 v[40:41], v[14:15], v[28:29]
	ds_read_b64 v[28:29], v254 offset:384
	v_mul_f64 v[14:15], v[22:23], v[12:13]
	v_mul_f64 v[14:15], v[198:199], v[14:15]
	v_mul_f64 v[12:13], v[18:19], v[12:13]
	v_mul_f64 v[12:13], v[206:207], v[12:13]
	s_waitcnt lgkmcnt(0)
	v_fmac_f64_e32 v[40:41], v[14:15], v[28:29]
	ds_read_b64 v[14:15], v254 offset:392
	s_waitcnt lgkmcnt(0)
	v_fmac_f64_e32 v[40:41], v[12:13], v[14:15]
	ds_read_b64 v[12:13], v126 offset:64
	ds_read_b64 v[14:15], v255 offset:64
	;; [unrolled: 1-line block ×3, first 2 shown]
	s_waitcnt lgkmcnt(1)
	v_mul_f64 v[12:13], v[12:13], v[14:15]
	v_mul_f64 v[14:15], v[10:11], v[12:13]
	;; [unrolled: 1-line block ×5, first 2 shown]
	s_waitcnt lgkmcnt(0)
	v_fmac_f64_e32 v[40:41], v[30:31], v[28:29]
	ds_read_b64 v[30:31], v254 offset:408
	v_mul_f64 v[28:29], v[32:33], v[14:15]
	v_mul_f64 v[28:29], v[192:193], v[28:29]
	s_waitcnt lgkmcnt(0)
	v_fmac_f64_e32 v[40:41], v[30:31], v[28:29]
	ds_read_b64 v[30:31], v254 offset:416
	v_mul_f64 v[28:29], v[26:27], v[14:15]
	v_mul_f64 v[28:29], v[202:203], v[28:29]
	s_waitcnt lgkmcnt(0)
	v_fmac_f64_e32 v[40:41], v[30:31], v[28:29]
	ds_read_b64 v[30:31], v254 offset:424
	v_mul_f64 v[28:29], v[22:23], v[14:15]
	v_mul_f64 v[28:29], v[198:199], v[28:29]
	v_mul_f64 v[14:15], v[18:19], v[14:15]
	v_mul_f64 v[14:15], v[206:207], v[14:15]
	s_waitcnt lgkmcnt(0)
	v_fmac_f64_e32 v[40:41], v[30:31], v[28:29]
	ds_read_b64 v[28:29], v254 offset:432
	ds_read_b64 v[30:31], v254 offset:440
	s_waitcnt lgkmcnt(1)
	v_fmac_f64_e32 v[40:41], v[14:15], v[28:29]
	v_mul_f64 v[14:15], v[8:9], v[12:13]
	v_mul_f64 v[14:15], v[106:107], v[14:15]
	v_mul_f64 v[28:29], v[36:37], v[14:15]
	v_mul_f64 v[28:29], v[210:211], v[28:29]
	s_waitcnt lgkmcnt(0)
	v_fmac_f64_e32 v[40:41], v[28:29], v[30:31]
	ds_read_b64 v[30:31], v254 offset:448
	v_mul_f64 v[28:29], v[32:33], v[14:15]
	v_mul_f64 v[28:29], v[192:193], v[28:29]
	s_waitcnt lgkmcnt(0)
	v_fmac_f64_e32 v[40:41], v[28:29], v[30:31]
	ds_read_b64 v[30:31], v254 offset:456
	v_mul_f64 v[28:29], v[26:27], v[14:15]
	v_mul_f64 v[28:29], v[202:203], v[28:29]
	s_waitcnt lgkmcnt(0)
	v_fmac_f64_e32 v[40:41], v[28:29], v[30:31]
	ds_read_b64 v[30:31], v254 offset:464
	v_mul_f64 v[28:29], v[22:23], v[14:15]
	v_mul_f64 v[28:29], v[198:199], v[28:29]
	v_mul_f64 v[14:15], v[18:19], v[14:15]
	v_mul_f64 v[14:15], v[206:207], v[14:15]
	s_waitcnt lgkmcnt(0)
	v_fmac_f64_e32 v[40:41], v[28:29], v[30:31]
	ds_read_b64 v[28:29], v254 offset:472
	ds_read_b64 v[30:31], v254 offset:480
	s_waitcnt lgkmcnt(1)
	v_fmac_f64_e32 v[40:41], v[14:15], v[28:29]
	v_mul_f64 v[14:15], v[6:7], v[12:13]
	v_mul_f64 v[14:15], v[102:103], v[14:15]
	v_mul_f64 v[28:29], v[36:37], v[14:15]
	v_mul_f64 v[28:29], v[210:211], v[28:29]
	;; [unrolled: 27-line block ×3, first 2 shown]
	s_waitcnt lgkmcnt(0)
	v_fmac_f64_e32 v[40:41], v[28:29], v[30:31]
	ds_read_b64 v[30:31], v254 offset:528
	v_mul_f64 v[28:29], v[32:33], v[14:15]
	v_mul_f64 v[28:29], v[192:193], v[28:29]
	;; [unrolled: 1-line block ×4, first 2 shown]
	s_waitcnt lgkmcnt(0)
	v_fmac_f64_e32 v[40:41], v[28:29], v[30:31]
	ds_read_b64 v[30:31], v254 offset:536
	v_mul_f64 v[28:29], v[26:27], v[14:15]
	v_mul_f64 v[28:29], v[202:203], v[28:29]
	s_waitcnt lgkmcnt(0)
	v_fmac_f64_e32 v[40:41], v[28:29], v[30:31]
	ds_read_b64 v[30:31], v254 offset:544
	v_mul_f64 v[28:29], v[22:23], v[14:15]
	v_mul_f64 v[28:29], v[198:199], v[28:29]
	;; [unrolled: 1-line block ×4, first 2 shown]
	s_waitcnt lgkmcnt(0)
	v_fmac_f64_e32 v[40:41], v[28:29], v[30:31]
	ds_read_b64 v[28:29], v254 offset:552
	s_waitcnt lgkmcnt(0)
	v_fmac_f64_e32 v[40:41], v[14:15], v[28:29]
	ds_read_b64 v[28:29], v254 offset:560
	v_mul_f64 v[14:15], v[36:37], v[12:13]
	v_mul_f64 v[14:15], v[210:211], v[14:15]
	s_waitcnt lgkmcnt(0)
	v_fmac_f64_e32 v[40:41], v[14:15], v[28:29]
	ds_read_b64 v[28:29], v254 offset:568
	v_mul_f64 v[14:15], v[32:33], v[12:13]
	v_mul_f64 v[14:15], v[192:193], v[14:15]
	s_waitcnt lgkmcnt(0)
	v_fmac_f64_e32 v[40:41], v[14:15], v[28:29]
	ds_read_b64 v[28:29], v254 offset:576
	v_mul_f64 v[14:15], v[26:27], v[12:13]
	v_mul_f64 v[14:15], v[202:203], v[14:15]
	s_waitcnt lgkmcnt(0)
	v_fmac_f64_e32 v[40:41], v[14:15], v[28:29]
	ds_read_b64 v[28:29], v254 offset:584
	v_mul_f64 v[14:15], v[22:23], v[12:13]
	v_mul_f64 v[14:15], v[198:199], v[14:15]
	v_mul_f64 v[12:13], v[18:19], v[12:13]
	v_mul_f64 v[12:13], v[206:207], v[12:13]
	s_waitcnt lgkmcnt(0)
	v_fmac_f64_e32 v[40:41], v[14:15], v[28:29]
	ds_read_b64 v[14:15], v254 offset:592
	s_waitcnt lgkmcnt(0)
	v_fmac_f64_e32 v[40:41], v[12:13], v[14:15]
	ds_read_b64 v[12:13], v126 offset:96
	ds_read_b64 v[14:15], v255 offset:96
	;; [unrolled: 1-line block ×3, first 2 shown]
	s_waitcnt lgkmcnt(1)
	v_mul_f64 v[12:13], v[12:13], v[14:15]
	v_mul_f64 v[14:15], v[10:11], v[12:13]
	;; [unrolled: 1-line block ×5, first 2 shown]
	s_waitcnt lgkmcnt(0)
	v_fmac_f64_e32 v[40:41], v[30:31], v[28:29]
	ds_read_b64 v[30:31], v254 offset:608
	v_mul_f64 v[28:29], v[32:33], v[14:15]
	v_mul_f64 v[28:29], v[192:193], v[28:29]
	s_waitcnt lgkmcnt(0)
	v_fmac_f64_e32 v[40:41], v[30:31], v[28:29]
	ds_read_b64 v[30:31], v254 offset:616
	v_mul_f64 v[28:29], v[26:27], v[14:15]
	v_mul_f64 v[28:29], v[202:203], v[28:29]
	s_waitcnt lgkmcnt(0)
	v_fmac_f64_e32 v[40:41], v[30:31], v[28:29]
	ds_read_b64 v[30:31], v254 offset:624
	v_mul_f64 v[28:29], v[22:23], v[14:15]
	v_mul_f64 v[28:29], v[198:199], v[28:29]
	v_mul_f64 v[14:15], v[18:19], v[14:15]
	v_mul_f64 v[14:15], v[206:207], v[14:15]
	s_waitcnt lgkmcnt(0)
	v_fmac_f64_e32 v[40:41], v[30:31], v[28:29]
	ds_read_b64 v[28:29], v254 offset:632
	ds_read_b64 v[30:31], v254 offset:640
	s_waitcnt lgkmcnt(1)
	v_fmac_f64_e32 v[40:41], v[14:15], v[28:29]
	v_mul_f64 v[14:15], v[8:9], v[12:13]
	v_mul_f64 v[14:15], v[106:107], v[14:15]
	v_mul_f64 v[28:29], v[36:37], v[14:15]
	v_mul_f64 v[28:29], v[210:211], v[28:29]
	s_waitcnt lgkmcnt(0)
	v_fmac_f64_e32 v[40:41], v[28:29], v[30:31]
	ds_read_b64 v[30:31], v254 offset:648
	v_mul_f64 v[28:29], v[32:33], v[14:15]
	v_mul_f64 v[28:29], v[192:193], v[28:29]
	s_waitcnt lgkmcnt(0)
	v_fmac_f64_e32 v[40:41], v[28:29], v[30:31]
	ds_read_b64 v[30:31], v254 offset:656
	v_mul_f64 v[28:29], v[26:27], v[14:15]
	v_mul_f64 v[28:29], v[202:203], v[28:29]
	s_waitcnt lgkmcnt(0)
	v_fmac_f64_e32 v[40:41], v[28:29], v[30:31]
	ds_read_b64 v[30:31], v254 offset:664
	v_mul_f64 v[28:29], v[22:23], v[14:15]
	v_mul_f64 v[28:29], v[198:199], v[28:29]
	v_mul_f64 v[14:15], v[18:19], v[14:15]
	v_mul_f64 v[14:15], v[206:207], v[14:15]
	s_waitcnt lgkmcnt(0)
	v_fmac_f64_e32 v[40:41], v[28:29], v[30:31]
	ds_read_b64 v[28:29], v254 offset:672
	ds_read_b64 v[30:31], v254 offset:680
	s_waitcnt lgkmcnt(1)
	v_fmac_f64_e32 v[40:41], v[14:15], v[28:29]
	v_mul_f64 v[14:15], v[6:7], v[12:13]
	v_mul_f64 v[14:15], v[102:103], v[14:15]
	v_mul_f64 v[28:29], v[36:37], v[14:15]
	v_mul_f64 v[28:29], v[210:211], v[28:29]
	;; [unrolled: 27-line block ×3, first 2 shown]
	s_waitcnt lgkmcnt(0)
	v_fmac_f64_e32 v[40:41], v[28:29], v[30:31]
	ds_read_b64 v[30:31], v254 offset:728
	v_mul_f64 v[28:29], v[32:33], v[14:15]
	v_mul_f64 v[28:29], v[192:193], v[28:29]
	;; [unrolled: 1-line block ×4, first 2 shown]
	s_waitcnt lgkmcnt(0)
	v_fmac_f64_e32 v[40:41], v[28:29], v[30:31]
	ds_read_b64 v[30:31], v254 offset:736
	v_mul_f64 v[28:29], v[26:27], v[14:15]
	v_mul_f64 v[28:29], v[202:203], v[28:29]
	s_waitcnt lgkmcnt(0)
	v_fmac_f64_e32 v[40:41], v[28:29], v[30:31]
	ds_read_b64 v[30:31], v254 offset:744
	v_mul_f64 v[28:29], v[22:23], v[14:15]
	v_mul_f64 v[28:29], v[198:199], v[28:29]
	;; [unrolled: 1-line block ×4, first 2 shown]
	s_waitcnt lgkmcnt(0)
	v_fmac_f64_e32 v[40:41], v[28:29], v[30:31]
	ds_read_b64 v[28:29], v254 offset:752
	s_waitcnt lgkmcnt(0)
	v_fmac_f64_e32 v[40:41], v[14:15], v[28:29]
	ds_read_b64 v[28:29], v254 offset:760
	v_mul_f64 v[14:15], v[36:37], v[12:13]
	v_mul_f64 v[14:15], v[210:211], v[14:15]
	s_waitcnt lgkmcnt(0)
	v_fmac_f64_e32 v[40:41], v[14:15], v[28:29]
	ds_read_b64 v[28:29], v254 offset:768
	v_mul_f64 v[14:15], v[32:33], v[12:13]
	v_mul_f64 v[14:15], v[192:193], v[14:15]
	;; [unrolled: 5-line block ×4, first 2 shown]
	v_mul_f64 v[12:13], v[18:19], v[12:13]
	v_mul_f64 v[12:13], v[206:207], v[12:13]
	s_waitcnt lgkmcnt(0)
	v_fmac_f64_e32 v[40:41], v[14:15], v[28:29]
	ds_read_b64 v[14:15], v254 offset:792
	s_waitcnt lgkmcnt(0)
	v_fmac_f64_e32 v[40:41], v[12:13], v[14:15]
	ds_read_b64 v[12:13], v126 offset:128
	ds_read_b64 v[14:15], v255 offset:128
	;; [unrolled: 1-line block ×3, first 2 shown]
	s_waitcnt lgkmcnt(1)
	v_mul_f64 v[12:13], v[12:13], v[14:15]
	v_mul_f64 v[10:11], v[10:11], v[12:13]
	;; [unrolled: 1-line block ×5, first 2 shown]
	s_waitcnt lgkmcnt(0)
	v_fmac_f64_e32 v[40:41], v[28:29], v[14:15]
	ds_read_b64 v[28:29], v254 offset:808
	v_mul_f64 v[14:15], v[32:33], v[10:11]
	v_mul_f64 v[14:15], v[192:193], v[14:15]
	v_mul_f64 v[8:9], v[8:9], v[12:13]
	v_mul_f64 v[8:9], v[106:107], v[8:9]
	s_waitcnt lgkmcnt(0)
	v_fmac_f64_e32 v[40:41], v[28:29], v[14:15]
	ds_read_b64 v[28:29], v254 offset:816
	v_mul_f64 v[14:15], v[26:27], v[10:11]
	v_mul_f64 v[14:15], v[202:203], v[14:15]
	v_mul_f64 v[6:7], v[6:7], v[12:13]
	v_mul_f64 v[6:7], v[102:103], v[6:7]
	;; [unrolled: 7-line block ×3, first 2 shown]
	s_waitcnt lgkmcnt(0)
	v_fmac_f64_e32 v[40:41], v[28:29], v[14:15]
	ds_read_b64 v[14:15], v254 offset:832
	v_mul_f64 v[4:5], v[4:5], v[12:13]
	v_mul_f64 v[4:5], v[116:117], v[4:5]
	s_waitcnt lgkmcnt(0)
	v_fmac_f64_e32 v[40:41], v[10:11], v[14:15]
	ds_read_b64 v[14:15], v254 offset:840
	v_mul_f64 v[10:11], v[36:37], v[8:9]
	v_mul_f64 v[10:11], v[210:211], v[10:11]
	;; [unrolled: 5-line block ×5, first 2 shown]
	v_mul_f64 v[8:9], v[18:19], v[8:9]
	v_mul_f64 v[8:9], v[206:207], v[8:9]
	s_waitcnt lgkmcnt(0)
	v_fmac_f64_e32 v[40:41], v[10:11], v[14:15]
	ds_read_b64 v[10:11], v254 offset:872
	s_waitcnt lgkmcnt(0)
	v_fmac_f64_e32 v[40:41], v[8:9], v[10:11]
	ds_read_b64 v[10:11], v254 offset:880
	v_mul_f64 v[8:9], v[36:37], v[6:7]
	v_mul_f64 v[8:9], v[210:211], v[8:9]
	s_waitcnt lgkmcnt(0)
	v_fmac_f64_e32 v[40:41], v[8:9], v[10:11]
	ds_read_b64 v[10:11], v254 offset:888
	v_mul_f64 v[8:9], v[32:33], v[6:7]
	v_mul_f64 v[8:9], v[192:193], v[8:9]
	;; [unrolled: 5-line block ×4, first 2 shown]
	v_mul_f64 v[6:7], v[18:19], v[6:7]
	v_mul_f64 v[6:7], v[206:207], v[6:7]
	s_waitcnt lgkmcnt(0)
	v_fmac_f64_e32 v[40:41], v[8:9], v[10:11]
	ds_read_b64 v[8:9], v254 offset:912
	s_waitcnt lgkmcnt(0)
	v_fmac_f64_e32 v[40:41], v[6:7], v[8:9]
	ds_read_b64 v[8:9], v254 offset:920
	v_mul_f64 v[6:7], v[36:37], v[4:5]
	v_mul_f64 v[6:7], v[210:211], v[6:7]
	s_waitcnt lgkmcnt(0)
	v_fmac_f64_e32 v[40:41], v[6:7], v[8:9]
	ds_read_b64 v[8:9], v254 offset:928
	v_mul_f64 v[6:7], v[32:33], v[4:5]
	v_mul_f64 v[6:7], v[192:193], v[6:7]
	;; [unrolled: 5-line block ×4, first 2 shown]
	v_mul_f64 v[4:5], v[18:19], v[4:5]
	v_mul_f64 v[4:5], v[206:207], v[4:5]
	s_waitcnt lgkmcnt(0)
	v_fmac_f64_e32 v[40:41], v[6:7], v[8:9]
	ds_read_b64 v[6:7], v254 offset:952
	ds_read_b64 v[8:9], v254 offset:960
	s_waitcnt lgkmcnt(1)
	v_fmac_f64_e32 v[40:41], v[4:5], v[6:7]
	v_mul_f64 v[4:5], v[44:45], v[12:13]
	v_mul_f64 v[4:5], v[112:113], v[4:5]
	;; [unrolled: 1-line block ×4, first 2 shown]
	s_waitcnt lgkmcnt(0)
	v_fmac_f64_e32 v[40:41], v[6:7], v[8:9]
	ds_read_b64 v[8:9], v254 offset:968
	v_mul_f64 v[6:7], v[32:33], v[4:5]
	v_mul_f64 v[6:7], v[192:193], v[6:7]
	s_waitcnt lgkmcnt(0)
	v_fmac_f64_e32 v[40:41], v[6:7], v[8:9]
	ds_read_b64 v[8:9], v254 offset:976
	v_mul_f64 v[6:7], v[26:27], v[4:5]
	v_mul_f64 v[6:7], v[202:203], v[6:7]
	;; [unrolled: 5-line block ×3, first 2 shown]
	v_mul_f64 v[4:5], v[18:19], v[4:5]
	v_mul_f64 v[4:5], v[206:207], v[4:5]
	s_waitcnt lgkmcnt(0)
	v_fmac_f64_e32 v[40:41], v[6:7], v[8:9]
	ds_read_b64 v[6:7], v254 offset:992
	v_add_co_u32_e32 v18, vcc, s6, v128
	v_addc_co_u32_e32 v19, vcc, 0, v129, vcc
	s_waitcnt lgkmcnt(0)
	v_fmac_f64_e32 v[40:41], v[4:5], v[6:7]
	global_store_dwordx2 v[18:19], v[40:41], off
	ds_read_b64 v[40:41], v125
	ds_read_b64 v[36:37], v125 offset:32
	ds_read_b64 v[32:33], v125 offset:64
	;; [unrolled: 1-line block ×4, first 2 shown]
	ds_read_b64 v[28:29], v124
	ds_read_b64 v[30:31], v254 offset:1024
	ds_read_b64 v[12:13], v124 offset:32
	;; [unrolled: 1-line block ×9, first 2 shown]
	ds_read_b64 v[44:45], v126
	ds_read_b64 v[56:57], v126 offset:32
	ds_read_b64 v[62:63], v255
	ds_read_b64 v[66:67], v255 offset:32
	;; [unrolled: 2-line block ×3, first 2 shown]
	ds_read_b64 v[84:85], v254 offset:16
	ds_read_b64 v[88:89], v254 offset:24
	;; [unrolled: 1-line block ×6, first 2 shown]
	s_waitcnt lgkmcnt(9)
	v_mul_f64 v[62:63], v[44:45], v[62:63]
	v_mul_f64 v[44:45], v[28:29], v[62:63]
	;; [unrolled: 1-line block ×5, first 2 shown]
	s_waitcnt lgkmcnt(7)
	v_fma_f64 v[44:45], v[74:75], v[44:45], 0
	v_mul_f64 v[74:75], v[36:37], v[70:71]
	v_mul_f64 v[74:75], v[104:105], v[74:75]
	s_waitcnt lgkmcnt(6)
	v_fmac_f64_e32 v[44:45], v[78:79], v[74:75]
	v_mul_f64 v[74:75], v[32:33], v[70:71]
	v_mul_f64 v[74:75], v[100:101], v[74:75]
	s_waitcnt lgkmcnt(5)
	v_fmac_f64_e32 v[44:45], v[84:85], v[74:75]
	v_mul_f64 v[74:75], v[26:27], v[70:71]
	v_mul_f64 v[74:75], v[114:115], v[74:75]
	;; [unrolled: 1-line block ×3, first 2 shown]
	s_waitcnt lgkmcnt(4)
	v_fmac_f64_e32 v[44:45], v[88:89], v[74:75]
	v_mul_f64 v[70:71], v[110:111], v[70:71]
	s_waitcnt lgkmcnt(3)
	v_fmac_f64_e32 v[44:45], v[70:71], v[94:95]
	v_mul_f64 v[70:71], v[12:13], v[62:63]
	v_mul_f64 v[70:71], v[14:15], v[70:71]
	;; [unrolled: 1-line block ×4, first 2 shown]
	s_waitcnt lgkmcnt(2)
	v_fmac_f64_e32 v[44:45], v[74:75], v[96:97]
	v_mul_f64 v[74:75], v[36:37], v[70:71]
	v_mul_f64 v[74:75], v[104:105], v[74:75]
	ds_read_b64 v[78:79], v254 offset:64
	s_waitcnt lgkmcnt(2)
	v_fmac_f64_e32 v[44:45], v[74:75], v[98:99]
	v_mul_f64 v[74:75], v[32:33], v[70:71]
	v_mul_f64 v[74:75], v[100:101], v[74:75]
	s_waitcnt lgkmcnt(1)
	v_fmac_f64_e32 v[44:45], v[74:75], v[102:103]
	v_mul_f64 v[74:75], v[26:27], v[70:71]
	v_mul_f64 v[74:75], v[114:115], v[74:75]
	s_waitcnt lgkmcnt(0)
	v_fmac_f64_e32 v[44:45], v[74:75], v[78:79]
	ds_read_b64 v[74:75], v254 offset:72
	ds_read_b64 v[78:79], v254 offset:80
	v_mul_f64 v[70:71], v[22:23], v[70:71]
	v_mul_f64 v[70:71], v[110:111], v[70:71]
	;; [unrolled: 1-line block ×3, first 2 shown]
	s_waitcnt lgkmcnt(1)
	v_fmac_f64_e32 v[44:45], v[70:71], v[74:75]
	v_mul_f64 v[70:71], v[8:9], v[62:63]
	v_mul_f64 v[70:71], v[10:11], v[70:71]
	;; [unrolled: 1-line block ×4, first 2 shown]
	s_waitcnt lgkmcnt(0)
	v_fmac_f64_e32 v[44:45], v[74:75], v[78:79]
	ds_read_b64 v[78:79], v254 offset:88
	v_mul_f64 v[74:75], v[36:37], v[70:71]
	v_mul_f64 v[74:75], v[104:105], v[74:75]
	s_waitcnt lgkmcnt(0)
	v_fmac_f64_e32 v[44:45], v[74:75], v[78:79]
	ds_read_b64 v[78:79], v254 offset:96
	v_mul_f64 v[74:75], v[32:33], v[70:71]
	v_mul_f64 v[74:75], v[100:101], v[74:75]
	;; [unrolled: 5-line block ×3, first 2 shown]
	v_mul_f64 v[70:71], v[22:23], v[70:71]
	v_mul_f64 v[70:71], v[110:111], v[70:71]
	s_waitcnt lgkmcnt(0)
	v_fmac_f64_e32 v[44:45], v[74:75], v[78:79]
	ds_read_b64 v[74:75], v254 offset:112
	ds_read_b64 v[78:79], v254 offset:120
	s_waitcnt lgkmcnt(1)
	v_fmac_f64_e32 v[44:45], v[70:71], v[74:75]
	v_mul_f64 v[70:71], v[4:5], v[62:63]
	v_mul_f64 v[70:71], v[6:7], v[70:71]
	v_mul_f64 v[74:75], v[40:41], v[70:71]
	v_mul_f64 v[74:75], v[92:93], v[74:75]
	s_waitcnt lgkmcnt(0)
	v_fmac_f64_e32 v[44:45], v[74:75], v[78:79]
	ds_read_b64 v[78:79], v254 offset:128
	v_mul_f64 v[74:75], v[36:37], v[70:71]
	v_mul_f64 v[74:75], v[104:105], v[74:75]
	v_mul_f64 v[62:63], v[48:49], v[62:63]
	v_mul_f64 v[62:63], v[52:53], v[62:63]
	s_waitcnt lgkmcnt(0)
	v_fmac_f64_e32 v[44:45], v[74:75], v[78:79]
	ds_read_b64 v[78:79], v254 offset:136
	v_mul_f64 v[74:75], v[32:33], v[70:71]
	v_mul_f64 v[74:75], v[100:101], v[74:75]
	s_waitcnt lgkmcnt(0)
	v_fmac_f64_e32 v[44:45], v[74:75], v[78:79]
	ds_read_b64 v[78:79], v254 offset:144
	v_mul_f64 v[74:75], v[26:27], v[70:71]
	v_mul_f64 v[74:75], v[114:115], v[74:75]
	;; [unrolled: 1-line block ×4, first 2 shown]
	s_waitcnt lgkmcnt(0)
	v_fmac_f64_e32 v[44:45], v[74:75], v[78:79]
	ds_read_b64 v[74:75], v254 offset:152
	s_waitcnt lgkmcnt(0)
	v_fmac_f64_e32 v[44:45], v[70:71], v[74:75]
	ds_read_b64 v[74:75], v254 offset:160
	v_mul_f64 v[70:71], v[40:41], v[62:63]
	v_mul_f64 v[70:71], v[92:93], v[70:71]
	s_waitcnt lgkmcnt(0)
	v_fmac_f64_e32 v[44:45], v[70:71], v[74:75]
	ds_read_b64 v[74:75], v254 offset:168
	v_mul_f64 v[70:71], v[36:37], v[62:63]
	v_mul_f64 v[70:71], v[104:105], v[70:71]
	;; [unrolled: 5-line block ×4, first 2 shown]
	v_mul_f64 v[62:63], v[22:23], v[62:63]
	v_mul_f64 v[62:63], v[110:111], v[62:63]
	s_waitcnt lgkmcnt(0)
	v_fmac_f64_e32 v[44:45], v[70:71], v[74:75]
	ds_read_b64 v[70:71], v254 offset:192
	s_waitcnt lgkmcnt(0)
	v_fmac_f64_e32 v[44:45], v[62:63], v[70:71]
	ds_read_b64 v[70:71], v254 offset:200
	v_mul_f64 v[62:63], v[28:29], v[56:57]
	v_mul_f64 v[62:63], v[30:31], v[62:63]
	v_mul_f64 v[66:67], v[40:41], v[62:63]
	v_mul_f64 v[66:67], v[92:93], v[66:67]
	s_waitcnt lgkmcnt(0)
	v_fmac_f64_e32 v[44:45], v[70:71], v[66:67]
	ds_read_b64 v[70:71], v254 offset:208
	v_mul_f64 v[66:67], v[36:37], v[62:63]
	v_mul_f64 v[66:67], v[104:105], v[66:67]
	s_waitcnt lgkmcnt(0)
	v_fmac_f64_e32 v[44:45], v[70:71], v[66:67]
	ds_read_b64 v[70:71], v254 offset:216
	v_mul_f64 v[66:67], v[32:33], v[62:63]
	v_mul_f64 v[66:67], v[100:101], v[66:67]
	s_waitcnt lgkmcnt(0)
	v_fmac_f64_e32 v[44:45], v[70:71], v[66:67]
	ds_read_b64 v[70:71], v254 offset:224
	v_mul_f64 v[66:67], v[26:27], v[62:63]
	v_mul_f64 v[66:67], v[114:115], v[66:67]
	v_mul_f64 v[62:63], v[22:23], v[62:63]
	v_mul_f64 v[62:63], v[110:111], v[62:63]
	s_waitcnt lgkmcnt(0)
	v_fmac_f64_e32 v[44:45], v[70:71], v[66:67]
	ds_read_b64 v[66:67], v254 offset:232
	ds_read_b64 v[70:71], v254 offset:240
	s_waitcnt lgkmcnt(1)
	v_fmac_f64_e32 v[44:45], v[62:63], v[66:67]
	v_mul_f64 v[62:63], v[12:13], v[56:57]
	v_mul_f64 v[62:63], v[14:15], v[62:63]
	v_mul_f64 v[66:67], v[40:41], v[62:63]
	v_mul_f64 v[66:67], v[92:93], v[66:67]
	s_waitcnt lgkmcnt(0)
	v_fmac_f64_e32 v[44:45], v[66:67], v[70:71]
	ds_read_b64 v[70:71], v254 offset:248
	v_mul_f64 v[66:67], v[36:37], v[62:63]
	v_mul_f64 v[66:67], v[104:105], v[66:67]
	s_waitcnt lgkmcnt(0)
	v_fmac_f64_e32 v[44:45], v[66:67], v[70:71]
	ds_read_b64 v[70:71], v254 offset:256
	v_mul_f64 v[66:67], v[32:33], v[62:63]
	v_mul_f64 v[66:67], v[100:101], v[66:67]
	s_waitcnt lgkmcnt(0)
	v_fmac_f64_e32 v[44:45], v[66:67], v[70:71]
	ds_read_b64 v[70:71], v254 offset:264
	v_mul_f64 v[66:67], v[26:27], v[62:63]
	v_mul_f64 v[66:67], v[114:115], v[66:67]
	v_mul_f64 v[62:63], v[22:23], v[62:63]
	v_mul_f64 v[62:63], v[110:111], v[62:63]
	s_waitcnt lgkmcnt(0)
	v_fmac_f64_e32 v[44:45], v[66:67], v[70:71]
	ds_read_b64 v[66:67], v254 offset:272
	ds_read_b64 v[70:71], v254 offset:280
	s_waitcnt lgkmcnt(1)
	v_fmac_f64_e32 v[44:45], v[62:63], v[66:67]
	;; [unrolled: 27-line block ×3, first 2 shown]
	v_mul_f64 v[62:63], v[4:5], v[56:57]
	v_mul_f64 v[62:63], v[6:7], v[62:63]
	;; [unrolled: 1-line block ×4, first 2 shown]
	s_waitcnt lgkmcnt(0)
	v_fmac_f64_e32 v[44:45], v[66:67], v[70:71]
	ds_read_b64 v[70:71], v254 offset:328
	v_mul_f64 v[66:67], v[36:37], v[62:63]
	v_mul_f64 v[66:67], v[104:105], v[66:67]
	;; [unrolled: 1-line block ×4, first 2 shown]
	s_waitcnt lgkmcnt(0)
	v_fmac_f64_e32 v[44:45], v[66:67], v[70:71]
	ds_read_b64 v[70:71], v254 offset:336
	v_mul_f64 v[66:67], v[32:33], v[62:63]
	v_mul_f64 v[66:67], v[100:101], v[66:67]
	s_waitcnt lgkmcnt(0)
	v_fmac_f64_e32 v[44:45], v[66:67], v[70:71]
	ds_read_b64 v[70:71], v254 offset:344
	v_mul_f64 v[66:67], v[26:27], v[62:63]
	v_mul_f64 v[66:67], v[114:115], v[66:67]
	;; [unrolled: 1-line block ×4, first 2 shown]
	s_waitcnt lgkmcnt(0)
	v_fmac_f64_e32 v[44:45], v[66:67], v[70:71]
	ds_read_b64 v[66:67], v254 offset:352
	s_waitcnt lgkmcnt(0)
	v_fmac_f64_e32 v[44:45], v[62:63], v[66:67]
	ds_read_b64 v[66:67], v254 offset:360
	v_mul_f64 v[62:63], v[40:41], v[56:57]
	v_mul_f64 v[62:63], v[92:93], v[62:63]
	s_waitcnt lgkmcnt(0)
	v_fmac_f64_e32 v[44:45], v[62:63], v[66:67]
	ds_read_b64 v[66:67], v254 offset:368
	v_mul_f64 v[62:63], v[36:37], v[56:57]
	v_mul_f64 v[62:63], v[104:105], v[62:63]
	;; [unrolled: 5-line block ×4, first 2 shown]
	v_mul_f64 v[56:57], v[22:23], v[56:57]
	v_mul_f64 v[56:57], v[110:111], v[56:57]
	s_waitcnt lgkmcnt(0)
	v_fmac_f64_e32 v[44:45], v[62:63], v[66:67]
	ds_read_b64 v[62:63], v254 offset:392
	s_waitcnt lgkmcnt(0)
	v_fmac_f64_e32 v[44:45], v[56:57], v[62:63]
	ds_read_b64 v[56:57], v126 offset:64
	ds_read_b64 v[62:63], v255 offset:64
	;; [unrolled: 1-line block ×3, first 2 shown]
	s_waitcnt lgkmcnt(1)
	v_mul_f64 v[56:57], v[56:57], v[62:63]
	v_mul_f64 v[62:63], v[28:29], v[56:57]
	v_mul_f64 v[62:63], v[30:31], v[62:63]
	v_mul_f64 v[66:67], v[40:41], v[62:63]
	v_mul_f64 v[66:67], v[92:93], v[66:67]
	s_waitcnt lgkmcnt(0)
	v_fmac_f64_e32 v[44:45], v[70:71], v[66:67]
	ds_read_b64 v[70:71], v254 offset:408
	v_mul_f64 v[66:67], v[36:37], v[62:63]
	v_mul_f64 v[66:67], v[104:105], v[66:67]
	s_waitcnt lgkmcnt(0)
	v_fmac_f64_e32 v[44:45], v[70:71], v[66:67]
	ds_read_b64 v[70:71], v254 offset:416
	v_mul_f64 v[66:67], v[32:33], v[62:63]
	v_mul_f64 v[66:67], v[100:101], v[66:67]
	s_waitcnt lgkmcnt(0)
	v_fmac_f64_e32 v[44:45], v[70:71], v[66:67]
	ds_read_b64 v[70:71], v254 offset:424
	v_mul_f64 v[66:67], v[26:27], v[62:63]
	v_mul_f64 v[66:67], v[114:115], v[66:67]
	v_mul_f64 v[62:63], v[22:23], v[62:63]
	v_mul_f64 v[62:63], v[110:111], v[62:63]
	s_waitcnt lgkmcnt(0)
	v_fmac_f64_e32 v[44:45], v[70:71], v[66:67]
	ds_read_b64 v[66:67], v254 offset:432
	ds_read_b64 v[70:71], v254 offset:440
	s_waitcnt lgkmcnt(1)
	v_fmac_f64_e32 v[44:45], v[62:63], v[66:67]
	v_mul_f64 v[62:63], v[12:13], v[56:57]
	v_mul_f64 v[62:63], v[14:15], v[62:63]
	v_mul_f64 v[66:67], v[40:41], v[62:63]
	v_mul_f64 v[66:67], v[92:93], v[66:67]
	s_waitcnt lgkmcnt(0)
	v_fmac_f64_e32 v[44:45], v[66:67], v[70:71]
	ds_read_b64 v[70:71], v254 offset:448
	v_mul_f64 v[66:67], v[36:37], v[62:63]
	v_mul_f64 v[66:67], v[104:105], v[66:67]
	s_waitcnt lgkmcnt(0)
	v_fmac_f64_e32 v[44:45], v[66:67], v[70:71]
	ds_read_b64 v[70:71], v254 offset:456
	v_mul_f64 v[66:67], v[32:33], v[62:63]
	v_mul_f64 v[66:67], v[100:101], v[66:67]
	s_waitcnt lgkmcnt(0)
	v_fmac_f64_e32 v[44:45], v[66:67], v[70:71]
	ds_read_b64 v[70:71], v254 offset:464
	v_mul_f64 v[66:67], v[26:27], v[62:63]
	v_mul_f64 v[66:67], v[114:115], v[66:67]
	v_mul_f64 v[62:63], v[22:23], v[62:63]
	v_mul_f64 v[62:63], v[110:111], v[62:63]
	s_waitcnt lgkmcnt(0)
	v_fmac_f64_e32 v[44:45], v[66:67], v[70:71]
	ds_read_b64 v[66:67], v254 offset:472
	ds_read_b64 v[70:71], v254 offset:480
	s_waitcnt lgkmcnt(1)
	v_fmac_f64_e32 v[44:45], v[62:63], v[66:67]
	v_mul_f64 v[62:63], v[8:9], v[56:57]
	v_mul_f64 v[62:63], v[10:11], v[62:63]
	v_mul_f64 v[66:67], v[40:41], v[62:63]
	v_mul_f64 v[66:67], v[92:93], v[66:67]
	;; [unrolled: 27-line block ×3, first 2 shown]
	s_waitcnt lgkmcnt(0)
	v_fmac_f64_e32 v[44:45], v[66:67], v[70:71]
	ds_read_b64 v[70:71], v254 offset:528
	v_mul_f64 v[66:67], v[36:37], v[62:63]
	v_mul_f64 v[66:67], v[104:105], v[66:67]
	;; [unrolled: 1-line block ×4, first 2 shown]
	s_waitcnt lgkmcnt(0)
	v_fmac_f64_e32 v[44:45], v[66:67], v[70:71]
	ds_read_b64 v[70:71], v254 offset:536
	v_mul_f64 v[66:67], v[32:33], v[62:63]
	v_mul_f64 v[66:67], v[100:101], v[66:67]
	s_waitcnt lgkmcnt(0)
	v_fmac_f64_e32 v[44:45], v[66:67], v[70:71]
	ds_read_b64 v[70:71], v254 offset:544
	v_mul_f64 v[66:67], v[26:27], v[62:63]
	v_mul_f64 v[66:67], v[114:115], v[66:67]
	v_mul_f64 v[62:63], v[22:23], v[62:63]
	v_mul_f64 v[62:63], v[110:111], v[62:63]
	s_waitcnt lgkmcnt(0)
	v_fmac_f64_e32 v[44:45], v[66:67], v[70:71]
	ds_read_b64 v[66:67], v254 offset:552
	s_waitcnt lgkmcnt(0)
	v_fmac_f64_e32 v[44:45], v[62:63], v[66:67]
	ds_read_b64 v[66:67], v254 offset:560
	v_mul_f64 v[62:63], v[40:41], v[56:57]
	v_mul_f64 v[62:63], v[92:93], v[62:63]
	s_waitcnt lgkmcnt(0)
	v_fmac_f64_e32 v[44:45], v[62:63], v[66:67]
	ds_read_b64 v[66:67], v254 offset:568
	v_mul_f64 v[62:63], v[36:37], v[56:57]
	v_mul_f64 v[62:63], v[104:105], v[62:63]
	s_waitcnt lgkmcnt(0)
	v_fmac_f64_e32 v[44:45], v[62:63], v[66:67]
	ds_read_b64 v[66:67], v254 offset:576
	v_mul_f64 v[62:63], v[32:33], v[56:57]
	v_mul_f64 v[62:63], v[100:101], v[62:63]
	s_waitcnt lgkmcnt(0)
	v_fmac_f64_e32 v[44:45], v[62:63], v[66:67]
	ds_read_b64 v[66:67], v254 offset:584
	v_mul_f64 v[62:63], v[26:27], v[56:57]
	v_mul_f64 v[62:63], v[114:115], v[62:63]
	v_mul_f64 v[56:57], v[22:23], v[56:57]
	v_mul_f64 v[56:57], v[110:111], v[56:57]
	s_waitcnt lgkmcnt(0)
	v_fmac_f64_e32 v[44:45], v[62:63], v[66:67]
	ds_read_b64 v[62:63], v254 offset:592
	s_waitcnt lgkmcnt(0)
	v_fmac_f64_e32 v[44:45], v[56:57], v[62:63]
	ds_read_b64 v[56:57], v126 offset:96
	ds_read_b64 v[62:63], v255 offset:96
	;; [unrolled: 1-line block ×3, first 2 shown]
	s_waitcnt lgkmcnt(1)
	v_mul_f64 v[56:57], v[56:57], v[62:63]
	v_mul_f64 v[62:63], v[28:29], v[56:57]
	;; [unrolled: 1-line block ×5, first 2 shown]
	s_waitcnt lgkmcnt(0)
	v_fmac_f64_e32 v[44:45], v[70:71], v[66:67]
	ds_read_b64 v[70:71], v254 offset:608
	v_mul_f64 v[66:67], v[36:37], v[62:63]
	v_mul_f64 v[66:67], v[104:105], v[66:67]
	s_waitcnt lgkmcnt(0)
	v_fmac_f64_e32 v[44:45], v[70:71], v[66:67]
	ds_read_b64 v[70:71], v254 offset:616
	v_mul_f64 v[66:67], v[32:33], v[62:63]
	v_mul_f64 v[66:67], v[100:101], v[66:67]
	s_waitcnt lgkmcnt(0)
	v_fmac_f64_e32 v[44:45], v[70:71], v[66:67]
	ds_read_b64 v[70:71], v254 offset:624
	v_mul_f64 v[66:67], v[26:27], v[62:63]
	v_mul_f64 v[66:67], v[114:115], v[66:67]
	v_mul_f64 v[62:63], v[22:23], v[62:63]
	v_mul_f64 v[62:63], v[110:111], v[62:63]
	s_waitcnt lgkmcnt(0)
	v_fmac_f64_e32 v[44:45], v[70:71], v[66:67]
	ds_read_b64 v[66:67], v254 offset:632
	ds_read_b64 v[70:71], v254 offset:640
	s_waitcnt lgkmcnt(1)
	v_fmac_f64_e32 v[44:45], v[62:63], v[66:67]
	v_mul_f64 v[62:63], v[12:13], v[56:57]
	v_mul_f64 v[62:63], v[14:15], v[62:63]
	v_mul_f64 v[66:67], v[40:41], v[62:63]
	v_mul_f64 v[66:67], v[92:93], v[66:67]
	s_waitcnt lgkmcnt(0)
	v_fmac_f64_e32 v[44:45], v[66:67], v[70:71]
	ds_read_b64 v[70:71], v254 offset:648
	v_mul_f64 v[66:67], v[36:37], v[62:63]
	v_mul_f64 v[66:67], v[104:105], v[66:67]
	s_waitcnt lgkmcnt(0)
	v_fmac_f64_e32 v[44:45], v[66:67], v[70:71]
	ds_read_b64 v[70:71], v254 offset:656
	v_mul_f64 v[66:67], v[32:33], v[62:63]
	v_mul_f64 v[66:67], v[100:101], v[66:67]
	s_waitcnt lgkmcnt(0)
	v_fmac_f64_e32 v[44:45], v[66:67], v[70:71]
	ds_read_b64 v[70:71], v254 offset:664
	v_mul_f64 v[66:67], v[26:27], v[62:63]
	v_mul_f64 v[66:67], v[114:115], v[66:67]
	v_mul_f64 v[62:63], v[22:23], v[62:63]
	v_mul_f64 v[62:63], v[110:111], v[62:63]
	s_waitcnt lgkmcnt(0)
	v_fmac_f64_e32 v[44:45], v[66:67], v[70:71]
	ds_read_b64 v[66:67], v254 offset:672
	ds_read_b64 v[70:71], v254 offset:680
	s_waitcnt lgkmcnt(1)
	v_fmac_f64_e32 v[44:45], v[62:63], v[66:67]
	v_mul_f64 v[62:63], v[8:9], v[56:57]
	v_mul_f64 v[62:63], v[10:11], v[62:63]
	v_mul_f64 v[66:67], v[40:41], v[62:63]
	v_mul_f64 v[66:67], v[92:93], v[66:67]
	;; [unrolled: 27-line block ×3, first 2 shown]
	s_waitcnt lgkmcnt(0)
	v_fmac_f64_e32 v[44:45], v[66:67], v[70:71]
	ds_read_b64 v[70:71], v254 offset:728
	v_mul_f64 v[66:67], v[36:37], v[62:63]
	v_mul_f64 v[66:67], v[104:105], v[66:67]
	;; [unrolled: 1-line block ×4, first 2 shown]
	s_waitcnt lgkmcnt(0)
	v_fmac_f64_e32 v[44:45], v[66:67], v[70:71]
	ds_read_b64 v[70:71], v254 offset:736
	v_mul_f64 v[66:67], v[32:33], v[62:63]
	v_mul_f64 v[66:67], v[100:101], v[66:67]
	s_waitcnt lgkmcnt(0)
	v_fmac_f64_e32 v[44:45], v[66:67], v[70:71]
	ds_read_b64 v[70:71], v254 offset:744
	v_mul_f64 v[66:67], v[26:27], v[62:63]
	v_mul_f64 v[66:67], v[114:115], v[66:67]
	;; [unrolled: 1-line block ×4, first 2 shown]
	s_waitcnt lgkmcnt(0)
	v_fmac_f64_e32 v[44:45], v[66:67], v[70:71]
	ds_read_b64 v[66:67], v254 offset:752
	s_waitcnt lgkmcnt(0)
	v_fmac_f64_e32 v[44:45], v[62:63], v[66:67]
	ds_read_b64 v[66:67], v254 offset:760
	v_mul_f64 v[62:63], v[40:41], v[56:57]
	v_mul_f64 v[62:63], v[92:93], v[62:63]
	s_waitcnt lgkmcnt(0)
	v_fmac_f64_e32 v[44:45], v[62:63], v[66:67]
	ds_read_b64 v[66:67], v254 offset:768
	v_mul_f64 v[62:63], v[36:37], v[56:57]
	v_mul_f64 v[62:63], v[104:105], v[62:63]
	;; [unrolled: 5-line block ×4, first 2 shown]
	v_mul_f64 v[56:57], v[22:23], v[56:57]
	v_mul_f64 v[56:57], v[110:111], v[56:57]
	s_waitcnt lgkmcnt(0)
	v_fmac_f64_e32 v[44:45], v[62:63], v[66:67]
	ds_read_b64 v[62:63], v254 offset:792
	s_waitcnt lgkmcnt(0)
	v_fmac_f64_e32 v[44:45], v[56:57], v[62:63]
	ds_read_b64 v[56:57], v126 offset:128
	ds_read_b64 v[62:63], v255 offset:128
	s_waitcnt lgkmcnt(0)
	v_mul_f64 v[56:57], v[56:57], v[62:63]
	ds_read_b64 v[62:63], v254 offset:800
	v_mul_f64 v[28:29], v[28:29], v[56:57]
	v_mul_f64 v[28:29], v[30:31], v[28:29]
	v_mul_f64 v[30:31], v[40:41], v[28:29]
	v_mul_f64 v[30:31], v[92:93], v[30:31]
	s_waitcnt lgkmcnt(0)
	v_fmac_f64_e32 v[44:45], v[62:63], v[30:31]
	ds_read_b64 v[62:63], v254 offset:808
	v_mul_f64 v[30:31], v[36:37], v[28:29]
	v_mul_f64 v[30:31], v[104:105], v[30:31]
	v_mul_f64 v[12:13], v[12:13], v[56:57]
	v_mul_f64 v[12:13], v[14:15], v[12:13]
	s_waitcnt lgkmcnt(0)
	v_fmac_f64_e32 v[44:45], v[62:63], v[30:31]
	;; [unrolled: 7-line block ×6, first 2 shown]
	ds_read_b64 v[28:29], v254 offset:848
	v_mul_f64 v[14:15], v[36:37], v[12:13]
	v_mul_f64 v[14:15], v[104:105], v[14:15]
	s_waitcnt lgkmcnt(0)
	v_fmac_f64_e32 v[44:45], v[14:15], v[28:29]
	ds_read_b64 v[28:29], v254 offset:856
	v_mul_f64 v[14:15], v[32:33], v[12:13]
	v_mul_f64 v[14:15], v[100:101], v[14:15]
	s_waitcnt lgkmcnt(0)
	v_fmac_f64_e32 v[44:45], v[14:15], v[28:29]
	ds_read_b64 v[28:29], v254 offset:864
	v_mul_f64 v[14:15], v[26:27], v[12:13]
	v_mul_f64 v[14:15], v[114:115], v[14:15]
	;; [unrolled: 1-line block ×4, first 2 shown]
	s_waitcnt lgkmcnt(0)
	v_fmac_f64_e32 v[44:45], v[14:15], v[28:29]
	ds_read_b64 v[14:15], v254 offset:872
	s_waitcnt lgkmcnt(0)
	v_fmac_f64_e32 v[44:45], v[12:13], v[14:15]
	ds_read_b64 v[12:13], v254 offset:880
	;; [unrolled: 3-line block ×3, first 2 shown]
	v_mul_f64 v[10:11], v[36:37], v[8:9]
	v_mul_f64 v[10:11], v[104:105], v[10:11]
	s_waitcnt lgkmcnt(0)
	v_fmac_f64_e32 v[44:45], v[10:11], v[12:13]
	ds_read_b64 v[12:13], v254 offset:896
	v_mul_f64 v[10:11], v[32:33], v[8:9]
	v_mul_f64 v[10:11], v[100:101], v[10:11]
	s_waitcnt lgkmcnt(0)
	v_fmac_f64_e32 v[44:45], v[10:11], v[12:13]
	ds_read_b64 v[12:13], v254 offset:904
	v_mul_f64 v[10:11], v[26:27], v[8:9]
	v_mul_f64 v[10:11], v[114:115], v[10:11]
	;; [unrolled: 1-line block ×4, first 2 shown]
	s_waitcnt lgkmcnt(0)
	v_fmac_f64_e32 v[44:45], v[10:11], v[12:13]
	ds_read_b64 v[10:11], v254 offset:912
	s_waitcnt lgkmcnt(0)
	v_fmac_f64_e32 v[44:45], v[8:9], v[10:11]
	ds_read_b64 v[8:9], v254 offset:920
	;; [unrolled: 3-line block ×3, first 2 shown]
	v_mul_f64 v[6:7], v[36:37], v[4:5]
	v_mul_f64 v[6:7], v[104:105], v[6:7]
	s_waitcnt lgkmcnt(0)
	v_fmac_f64_e32 v[44:45], v[6:7], v[8:9]
	ds_read_b64 v[8:9], v254 offset:936
	v_mul_f64 v[6:7], v[32:33], v[4:5]
	v_mul_f64 v[6:7], v[100:101], v[6:7]
	s_waitcnt lgkmcnt(0)
	v_fmac_f64_e32 v[44:45], v[6:7], v[8:9]
	ds_read_b64 v[8:9], v254 offset:944
	v_mul_f64 v[6:7], v[26:27], v[4:5]
	v_mul_f64 v[6:7], v[114:115], v[6:7]
	;; [unrolled: 1-line block ×4, first 2 shown]
	s_waitcnt lgkmcnt(0)
	v_fmac_f64_e32 v[44:45], v[6:7], v[8:9]
	ds_read_b64 v[6:7], v254 offset:952
	ds_read_b64 v[8:9], v254 offset:960
	s_waitcnt lgkmcnt(1)
	v_fmac_f64_e32 v[44:45], v[4:5], v[6:7]
	v_mul_f64 v[4:5], v[48:49], v[56:57]
	v_mul_f64 v[4:5], v[52:53], v[4:5]
	;; [unrolled: 1-line block ×4, first 2 shown]
	s_waitcnt lgkmcnt(0)
	v_fmac_f64_e32 v[44:45], v[6:7], v[8:9]
	ds_read_b64 v[8:9], v254 offset:968
	v_mul_f64 v[6:7], v[36:37], v[4:5]
	v_mul_f64 v[6:7], v[104:105], v[6:7]
	s_waitcnt lgkmcnt(0)
	v_fmac_f64_e32 v[44:45], v[6:7], v[8:9]
	ds_read_b64 v[8:9], v254 offset:976
	v_mul_f64 v[6:7], v[32:33], v[4:5]
	v_mul_f64 v[6:7], v[100:101], v[6:7]
	;; [unrolled: 5-line block ×3, first 2 shown]
	v_mul_f64 v[4:5], v[22:23], v[4:5]
	v_mul_f64 v[4:5], v[110:111], v[4:5]
	s_waitcnt lgkmcnt(0)
	v_fmac_f64_e32 v[44:45], v[6:7], v[8:9]
	ds_read_b64 v[6:7], v254 offset:992
	buffer_load_dword v122, off, s[20:23], 0 offset:1768 ; 4-byte Folded Reload
	buffer_load_dword v123, off, s[20:23], 0 offset:1772 ; 4-byte Folded Reload
	s_waitcnt lgkmcnt(0)
	v_fmac_f64_e32 v[44:45], v[4:5], v[6:7]
	s_waitcnt vmcnt(0)
	global_store_dwordx2 v[122:123], v[44:45], off
	ds_read_b64 v[56:57], v125
	ds_read_b64 v[62:63], v254 offset:1024
	ds_read_b64 v[48:49], v125 offset:32
	;; [unrolled: 1-line block ×9, first 2 shown]
	ds_read_b64 v[10:11], v124
	ds_read_b64 v[8:9], v124 offset:32
	ds_read_b64 v[6:7], v124 offset:64
	;; [unrolled: 1-line block ×4, first 2 shown]
	ds_read_b64 v[12:13], v126
	ds_read_b64 v[14:15], v126 offset:32
	ds_read_b64 v[28:29], v255
	ds_read_b64 v[30:31], v255 offset:32
	;; [unrolled: 2-line block ×3, first 2 shown]
	ds_read_b64 v[84:85], v254 offset:16
	ds_read_b64 v[88:89], v254 offset:24
	;; [unrolled: 1-line block ×6, first 2 shown]
	s_waitcnt lgkmcnt(9)
	v_mul_f64 v[12:13], v[12:13], v[28:29]
	v_mul_f64 v[28:29], v[10:11], v[12:13]
	;; [unrolled: 1-line block ×5, first 2 shown]
	s_waitcnt lgkmcnt(7)
	v_fma_f64 v[66:67], v[74:75], v[66:67], 0
	v_mul_f64 v[74:75], v[48:49], v[28:29]
	v_mul_f64 v[74:75], v[52:53], v[74:75]
	s_waitcnt lgkmcnt(6)
	v_fmac_f64_e32 v[66:67], v[78:79], v[74:75]
	v_mul_f64 v[74:75], v[40:41], v[28:29]
	v_mul_f64 v[74:75], v[44:45], v[74:75]
	s_waitcnt lgkmcnt(5)
	v_fmac_f64_e32 v[66:67], v[84:85], v[74:75]
	v_mul_f64 v[74:75], v[32:33], v[28:29]
	v_mul_f64 v[74:75], v[36:37], v[74:75]
	;; [unrolled: 1-line block ×3, first 2 shown]
	s_waitcnt lgkmcnt(4)
	v_fmac_f64_e32 v[66:67], v[88:89], v[74:75]
	v_mul_f64 v[28:29], v[26:27], v[28:29]
	s_waitcnt lgkmcnt(3)
	v_fmac_f64_e32 v[66:67], v[28:29], v[92:93]
	v_mul_f64 v[28:29], v[8:9], v[12:13]
	v_mul_f64 v[28:29], v[52:53], v[28:29]
	;; [unrolled: 1-line block ×4, first 2 shown]
	s_waitcnt lgkmcnt(2)
	v_fmac_f64_e32 v[66:67], v[74:75], v[94:95]
	v_mul_f64 v[74:75], v[48:49], v[28:29]
	v_mul_f64 v[74:75], v[52:53], v[74:75]
	ds_read_b64 v[78:79], v254 offset:64
	s_waitcnt lgkmcnt(2)
	v_fmac_f64_e32 v[66:67], v[74:75], v[96:97]
	v_mul_f64 v[74:75], v[40:41], v[28:29]
	v_mul_f64 v[74:75], v[44:45], v[74:75]
	s_waitcnt lgkmcnt(1)
	v_fmac_f64_e32 v[66:67], v[74:75], v[98:99]
	v_mul_f64 v[74:75], v[32:33], v[28:29]
	v_mul_f64 v[74:75], v[36:37], v[74:75]
	s_waitcnt lgkmcnt(0)
	v_fmac_f64_e32 v[66:67], v[74:75], v[78:79]
	ds_read_b64 v[74:75], v254 offset:72
	ds_read_b64 v[78:79], v254 offset:80
	v_mul_f64 v[28:29], v[22:23], v[28:29]
	v_mul_f64 v[28:29], v[26:27], v[28:29]
	s_waitcnt lgkmcnt(1)
	v_fmac_f64_e32 v[66:67], v[28:29], v[74:75]
	v_mul_f64 v[28:29], v[6:7], v[12:13]
	v_mul_f64 v[28:29], v[44:45], v[28:29]
	;; [unrolled: 1-line block ×4, first 2 shown]
	s_waitcnt lgkmcnt(0)
	v_fmac_f64_e32 v[66:67], v[74:75], v[78:79]
	ds_read_b64 v[78:79], v254 offset:88
	v_mul_f64 v[74:75], v[48:49], v[28:29]
	v_mul_f64 v[74:75], v[52:53], v[74:75]
	s_waitcnt lgkmcnt(0)
	v_fmac_f64_e32 v[66:67], v[74:75], v[78:79]
	ds_read_b64 v[78:79], v254 offset:96
	v_mul_f64 v[74:75], v[40:41], v[28:29]
	v_mul_f64 v[74:75], v[44:45], v[74:75]
	;; [unrolled: 5-line block ×3, first 2 shown]
	v_mul_f64 v[28:29], v[22:23], v[28:29]
	v_mul_f64 v[28:29], v[26:27], v[28:29]
	s_waitcnt lgkmcnt(0)
	v_fmac_f64_e32 v[66:67], v[74:75], v[78:79]
	ds_read_b64 v[74:75], v254 offset:112
	ds_read_b64 v[78:79], v254 offset:120
	s_waitcnt lgkmcnt(1)
	v_fmac_f64_e32 v[66:67], v[28:29], v[74:75]
	v_mul_f64 v[28:29], v[4:5], v[12:13]
	v_mul_f64 v[28:29], v[36:37], v[28:29]
	;; [unrolled: 1-line block ×4, first 2 shown]
	s_waitcnt lgkmcnt(0)
	v_fmac_f64_e32 v[66:67], v[74:75], v[78:79]
	ds_read_b64 v[78:79], v254 offset:128
	v_mul_f64 v[74:75], v[48:49], v[28:29]
	v_mul_f64 v[74:75], v[52:53], v[74:75]
	;; [unrolled: 1-line block ×4, first 2 shown]
	s_waitcnt lgkmcnt(0)
	v_fmac_f64_e32 v[66:67], v[74:75], v[78:79]
	ds_read_b64 v[78:79], v254 offset:136
	v_mul_f64 v[74:75], v[40:41], v[28:29]
	v_mul_f64 v[74:75], v[44:45], v[74:75]
	s_waitcnt lgkmcnt(0)
	v_fmac_f64_e32 v[66:67], v[74:75], v[78:79]
	ds_read_b64 v[78:79], v254 offset:144
	v_mul_f64 v[74:75], v[32:33], v[28:29]
	v_mul_f64 v[74:75], v[36:37], v[74:75]
	;; [unrolled: 1-line block ×4, first 2 shown]
	s_waitcnt lgkmcnt(0)
	v_fmac_f64_e32 v[66:67], v[74:75], v[78:79]
	ds_read_b64 v[74:75], v254 offset:152
	s_waitcnt lgkmcnt(0)
	v_fmac_f64_e32 v[66:67], v[28:29], v[74:75]
	ds_read_b64 v[74:75], v254 offset:160
	v_mul_f64 v[28:29], v[56:57], v[12:13]
	v_mul_f64 v[28:29], v[62:63], v[28:29]
	s_waitcnt lgkmcnt(0)
	v_fmac_f64_e32 v[66:67], v[28:29], v[74:75]
	ds_read_b64 v[74:75], v254 offset:168
	v_mul_f64 v[28:29], v[48:49], v[12:13]
	v_mul_f64 v[28:29], v[52:53], v[28:29]
	;; [unrolled: 5-line block ×4, first 2 shown]
	v_mul_f64 v[12:13], v[22:23], v[12:13]
	v_mul_f64 v[12:13], v[26:27], v[12:13]
	s_waitcnt lgkmcnt(0)
	v_fmac_f64_e32 v[66:67], v[28:29], v[74:75]
	ds_read_b64 v[28:29], v254 offset:192
	s_waitcnt lgkmcnt(0)
	v_fmac_f64_e32 v[66:67], v[12:13], v[28:29]
	v_mul_f64 v[12:13], v[14:15], v[30:31]
	ds_read_b64 v[30:31], v254 offset:200
	v_mul_f64 v[14:15], v[10:11], v[12:13]
	v_mul_f64 v[14:15], v[62:63], v[14:15]
	v_mul_f64 v[28:29], v[56:57], v[14:15]
	v_mul_f64 v[28:29], v[62:63], v[28:29]
	s_waitcnt lgkmcnt(0)
	v_fmac_f64_e32 v[66:67], v[30:31], v[28:29]
	ds_read_b64 v[30:31], v254 offset:208
	v_mul_f64 v[28:29], v[48:49], v[14:15]
	v_mul_f64 v[28:29], v[52:53], v[28:29]
	s_waitcnt lgkmcnt(0)
	v_fmac_f64_e32 v[66:67], v[30:31], v[28:29]
	ds_read_b64 v[30:31], v254 offset:216
	v_mul_f64 v[28:29], v[40:41], v[14:15]
	v_mul_f64 v[28:29], v[44:45], v[28:29]
	s_waitcnt lgkmcnt(0)
	v_fmac_f64_e32 v[66:67], v[30:31], v[28:29]
	ds_read_b64 v[30:31], v254 offset:224
	v_mul_f64 v[28:29], v[32:33], v[14:15]
	v_mul_f64 v[28:29], v[36:37], v[28:29]
	v_mul_f64 v[14:15], v[22:23], v[14:15]
	v_mul_f64 v[14:15], v[26:27], v[14:15]
	s_waitcnt lgkmcnt(0)
	v_fmac_f64_e32 v[66:67], v[30:31], v[28:29]
	ds_read_b64 v[28:29], v254 offset:232
	ds_read_b64 v[30:31], v254 offset:240
	s_waitcnt lgkmcnt(1)
	v_fmac_f64_e32 v[66:67], v[14:15], v[28:29]
	v_mul_f64 v[14:15], v[8:9], v[12:13]
	v_mul_f64 v[14:15], v[52:53], v[14:15]
	v_mul_f64 v[28:29], v[56:57], v[14:15]
	v_mul_f64 v[28:29], v[62:63], v[28:29]
	s_waitcnt lgkmcnt(0)
	v_fmac_f64_e32 v[66:67], v[28:29], v[30:31]
	ds_read_b64 v[30:31], v254 offset:248
	v_mul_f64 v[28:29], v[48:49], v[14:15]
	v_mul_f64 v[28:29], v[52:53], v[28:29]
	s_waitcnt lgkmcnt(0)
	v_fmac_f64_e32 v[66:67], v[28:29], v[30:31]
	ds_read_b64 v[30:31], v254 offset:256
	v_mul_f64 v[28:29], v[40:41], v[14:15]
	v_mul_f64 v[28:29], v[44:45], v[28:29]
	s_waitcnt lgkmcnt(0)
	v_fmac_f64_e32 v[66:67], v[28:29], v[30:31]
	ds_read_b64 v[30:31], v254 offset:264
	v_mul_f64 v[28:29], v[32:33], v[14:15]
	v_mul_f64 v[28:29], v[36:37], v[28:29]
	v_mul_f64 v[14:15], v[22:23], v[14:15]
	v_mul_f64 v[14:15], v[26:27], v[14:15]
	s_waitcnt lgkmcnt(0)
	v_fmac_f64_e32 v[66:67], v[28:29], v[30:31]
	ds_read_b64 v[28:29], v254 offset:272
	ds_read_b64 v[30:31], v254 offset:280
	s_waitcnt lgkmcnt(1)
	v_fmac_f64_e32 v[66:67], v[14:15], v[28:29]
	;; [unrolled: 27-line block ×3, first 2 shown]
	v_mul_f64 v[14:15], v[4:5], v[12:13]
	v_mul_f64 v[14:15], v[36:37], v[14:15]
	;; [unrolled: 1-line block ×4, first 2 shown]
	s_waitcnt lgkmcnt(0)
	v_fmac_f64_e32 v[66:67], v[28:29], v[30:31]
	ds_read_b64 v[30:31], v254 offset:328
	v_mul_f64 v[28:29], v[48:49], v[14:15]
	v_mul_f64 v[28:29], v[52:53], v[28:29]
	;; [unrolled: 1-line block ×4, first 2 shown]
	s_waitcnt lgkmcnt(0)
	v_fmac_f64_e32 v[66:67], v[28:29], v[30:31]
	ds_read_b64 v[30:31], v254 offset:336
	v_mul_f64 v[28:29], v[40:41], v[14:15]
	v_mul_f64 v[28:29], v[44:45], v[28:29]
	s_waitcnt lgkmcnt(0)
	v_fmac_f64_e32 v[66:67], v[28:29], v[30:31]
	ds_read_b64 v[30:31], v254 offset:344
	v_mul_f64 v[28:29], v[32:33], v[14:15]
	v_mul_f64 v[28:29], v[36:37], v[28:29]
	;; [unrolled: 1-line block ×4, first 2 shown]
	s_waitcnt lgkmcnt(0)
	v_fmac_f64_e32 v[66:67], v[28:29], v[30:31]
	ds_read_b64 v[28:29], v254 offset:352
	s_waitcnt lgkmcnt(0)
	v_fmac_f64_e32 v[66:67], v[14:15], v[28:29]
	ds_read_b64 v[28:29], v254 offset:360
	v_mul_f64 v[14:15], v[56:57], v[12:13]
	v_mul_f64 v[14:15], v[62:63], v[14:15]
	s_waitcnt lgkmcnt(0)
	v_fmac_f64_e32 v[66:67], v[14:15], v[28:29]
	ds_read_b64 v[28:29], v254 offset:368
	v_mul_f64 v[14:15], v[48:49], v[12:13]
	v_mul_f64 v[14:15], v[52:53], v[14:15]
	;; [unrolled: 5-line block ×4, first 2 shown]
	v_mul_f64 v[12:13], v[22:23], v[12:13]
	v_mul_f64 v[12:13], v[26:27], v[12:13]
	s_waitcnt lgkmcnt(0)
	v_fmac_f64_e32 v[66:67], v[14:15], v[28:29]
	ds_read_b64 v[14:15], v254 offset:392
	s_waitcnt lgkmcnt(0)
	v_fmac_f64_e32 v[66:67], v[12:13], v[14:15]
	ds_read_b64 v[12:13], v126 offset:64
	ds_read_b64 v[14:15], v255 offset:64
	;; [unrolled: 1-line block ×3, first 2 shown]
	s_waitcnt lgkmcnt(1)
	v_mul_f64 v[12:13], v[12:13], v[14:15]
	v_mul_f64 v[14:15], v[10:11], v[12:13]
	;; [unrolled: 1-line block ×5, first 2 shown]
	s_waitcnt lgkmcnt(0)
	v_fmac_f64_e32 v[66:67], v[30:31], v[28:29]
	ds_read_b64 v[30:31], v254 offset:408
	v_mul_f64 v[28:29], v[48:49], v[14:15]
	v_mul_f64 v[28:29], v[52:53], v[28:29]
	s_waitcnt lgkmcnt(0)
	v_fmac_f64_e32 v[66:67], v[30:31], v[28:29]
	ds_read_b64 v[30:31], v254 offset:416
	v_mul_f64 v[28:29], v[40:41], v[14:15]
	v_mul_f64 v[28:29], v[44:45], v[28:29]
	s_waitcnt lgkmcnt(0)
	v_fmac_f64_e32 v[66:67], v[30:31], v[28:29]
	ds_read_b64 v[30:31], v254 offset:424
	v_mul_f64 v[28:29], v[32:33], v[14:15]
	v_mul_f64 v[28:29], v[36:37], v[28:29]
	v_mul_f64 v[14:15], v[22:23], v[14:15]
	v_mul_f64 v[14:15], v[26:27], v[14:15]
	s_waitcnt lgkmcnt(0)
	v_fmac_f64_e32 v[66:67], v[30:31], v[28:29]
	ds_read_b64 v[28:29], v254 offset:432
	ds_read_b64 v[30:31], v254 offset:440
	s_waitcnt lgkmcnt(1)
	v_fmac_f64_e32 v[66:67], v[14:15], v[28:29]
	v_mul_f64 v[14:15], v[8:9], v[12:13]
	v_mul_f64 v[14:15], v[52:53], v[14:15]
	v_mul_f64 v[28:29], v[56:57], v[14:15]
	v_mul_f64 v[28:29], v[62:63], v[28:29]
	s_waitcnt lgkmcnt(0)
	v_fmac_f64_e32 v[66:67], v[28:29], v[30:31]
	ds_read_b64 v[30:31], v254 offset:448
	v_mul_f64 v[28:29], v[48:49], v[14:15]
	v_mul_f64 v[28:29], v[52:53], v[28:29]
	s_waitcnt lgkmcnt(0)
	v_fmac_f64_e32 v[66:67], v[28:29], v[30:31]
	ds_read_b64 v[30:31], v254 offset:456
	v_mul_f64 v[28:29], v[40:41], v[14:15]
	v_mul_f64 v[28:29], v[44:45], v[28:29]
	s_waitcnt lgkmcnt(0)
	v_fmac_f64_e32 v[66:67], v[28:29], v[30:31]
	ds_read_b64 v[30:31], v254 offset:464
	v_mul_f64 v[28:29], v[32:33], v[14:15]
	v_mul_f64 v[28:29], v[36:37], v[28:29]
	v_mul_f64 v[14:15], v[22:23], v[14:15]
	v_mul_f64 v[14:15], v[26:27], v[14:15]
	s_waitcnt lgkmcnt(0)
	v_fmac_f64_e32 v[66:67], v[28:29], v[30:31]
	ds_read_b64 v[28:29], v254 offset:472
	ds_read_b64 v[30:31], v254 offset:480
	s_waitcnt lgkmcnt(1)
	v_fmac_f64_e32 v[66:67], v[14:15], v[28:29]
	v_mul_f64 v[14:15], v[6:7], v[12:13]
	v_mul_f64 v[14:15], v[44:45], v[14:15]
	v_mul_f64 v[28:29], v[56:57], v[14:15]
	v_mul_f64 v[28:29], v[62:63], v[28:29]
	;; [unrolled: 27-line block ×3, first 2 shown]
	s_waitcnt lgkmcnt(0)
	v_fmac_f64_e32 v[66:67], v[28:29], v[30:31]
	ds_read_b64 v[30:31], v254 offset:528
	v_mul_f64 v[28:29], v[48:49], v[14:15]
	v_mul_f64 v[28:29], v[52:53], v[28:29]
	v_mul_f64 v[12:13], v[70:71], v[12:13]
	v_mul_f64 v[12:13], v[26:27], v[12:13]
	s_waitcnt lgkmcnt(0)
	v_fmac_f64_e32 v[66:67], v[28:29], v[30:31]
	ds_read_b64 v[30:31], v254 offset:536
	v_mul_f64 v[28:29], v[40:41], v[14:15]
	v_mul_f64 v[28:29], v[44:45], v[28:29]
	s_waitcnt lgkmcnt(0)
	v_fmac_f64_e32 v[66:67], v[28:29], v[30:31]
	ds_read_b64 v[30:31], v254 offset:544
	v_mul_f64 v[28:29], v[32:33], v[14:15]
	v_mul_f64 v[28:29], v[36:37], v[28:29]
	;; [unrolled: 1-line block ×4, first 2 shown]
	s_waitcnt lgkmcnt(0)
	v_fmac_f64_e32 v[66:67], v[28:29], v[30:31]
	ds_read_b64 v[28:29], v254 offset:552
	s_waitcnt lgkmcnt(0)
	v_fmac_f64_e32 v[66:67], v[14:15], v[28:29]
	ds_read_b64 v[28:29], v254 offset:560
	v_mul_f64 v[14:15], v[56:57], v[12:13]
	v_mul_f64 v[14:15], v[62:63], v[14:15]
	s_waitcnt lgkmcnt(0)
	v_fmac_f64_e32 v[66:67], v[14:15], v[28:29]
	ds_read_b64 v[28:29], v254 offset:568
	v_mul_f64 v[14:15], v[48:49], v[12:13]
	v_mul_f64 v[14:15], v[52:53], v[14:15]
	;; [unrolled: 5-line block ×4, first 2 shown]
	v_mul_f64 v[12:13], v[22:23], v[12:13]
	v_mul_f64 v[12:13], v[26:27], v[12:13]
	s_waitcnt lgkmcnt(0)
	v_fmac_f64_e32 v[66:67], v[14:15], v[28:29]
	ds_read_b64 v[14:15], v254 offset:592
	s_waitcnt lgkmcnt(0)
	v_fmac_f64_e32 v[66:67], v[12:13], v[14:15]
	ds_read_b64 v[12:13], v126 offset:96
	ds_read_b64 v[14:15], v255 offset:96
	ds_read_b64 v[30:31], v254 offset:600
	s_waitcnt lgkmcnt(1)
	v_mul_f64 v[12:13], v[12:13], v[14:15]
	v_mul_f64 v[14:15], v[10:11], v[12:13]
	;; [unrolled: 1-line block ×5, first 2 shown]
	s_waitcnt lgkmcnt(0)
	v_fmac_f64_e32 v[66:67], v[30:31], v[28:29]
	ds_read_b64 v[30:31], v254 offset:608
	v_mul_f64 v[28:29], v[48:49], v[14:15]
	v_mul_f64 v[28:29], v[52:53], v[28:29]
	s_waitcnt lgkmcnt(0)
	v_fmac_f64_e32 v[66:67], v[30:31], v[28:29]
	ds_read_b64 v[30:31], v254 offset:616
	v_mul_f64 v[28:29], v[40:41], v[14:15]
	v_mul_f64 v[28:29], v[44:45], v[28:29]
	s_waitcnt lgkmcnt(0)
	v_fmac_f64_e32 v[66:67], v[30:31], v[28:29]
	ds_read_b64 v[30:31], v254 offset:624
	v_mul_f64 v[28:29], v[32:33], v[14:15]
	v_mul_f64 v[28:29], v[36:37], v[28:29]
	v_mul_f64 v[14:15], v[22:23], v[14:15]
	v_mul_f64 v[14:15], v[26:27], v[14:15]
	s_waitcnt lgkmcnt(0)
	v_fmac_f64_e32 v[66:67], v[30:31], v[28:29]
	ds_read_b64 v[28:29], v254 offset:632
	ds_read_b64 v[30:31], v254 offset:640
	s_waitcnt lgkmcnt(1)
	v_fmac_f64_e32 v[66:67], v[14:15], v[28:29]
	v_mul_f64 v[14:15], v[8:9], v[12:13]
	v_mul_f64 v[14:15], v[52:53], v[14:15]
	v_mul_f64 v[28:29], v[56:57], v[14:15]
	v_mul_f64 v[28:29], v[62:63], v[28:29]
	s_waitcnt lgkmcnt(0)
	v_fmac_f64_e32 v[66:67], v[28:29], v[30:31]
	ds_read_b64 v[30:31], v254 offset:648
	v_mul_f64 v[28:29], v[48:49], v[14:15]
	v_mul_f64 v[28:29], v[52:53], v[28:29]
	s_waitcnt lgkmcnt(0)
	v_fmac_f64_e32 v[66:67], v[28:29], v[30:31]
	ds_read_b64 v[30:31], v254 offset:656
	v_mul_f64 v[28:29], v[40:41], v[14:15]
	v_mul_f64 v[28:29], v[44:45], v[28:29]
	s_waitcnt lgkmcnt(0)
	v_fmac_f64_e32 v[66:67], v[28:29], v[30:31]
	ds_read_b64 v[30:31], v254 offset:664
	v_mul_f64 v[28:29], v[32:33], v[14:15]
	v_mul_f64 v[28:29], v[36:37], v[28:29]
	v_mul_f64 v[14:15], v[22:23], v[14:15]
	v_mul_f64 v[14:15], v[26:27], v[14:15]
	s_waitcnt lgkmcnt(0)
	v_fmac_f64_e32 v[66:67], v[28:29], v[30:31]
	ds_read_b64 v[28:29], v254 offset:672
	ds_read_b64 v[30:31], v254 offset:680
	s_waitcnt lgkmcnt(1)
	v_fmac_f64_e32 v[66:67], v[14:15], v[28:29]
	v_mul_f64 v[14:15], v[6:7], v[12:13]
	v_mul_f64 v[14:15], v[44:45], v[14:15]
	v_mul_f64 v[28:29], v[56:57], v[14:15]
	v_mul_f64 v[28:29], v[62:63], v[28:29]
	;; [unrolled: 27-line block ×3, first 2 shown]
	s_waitcnt lgkmcnt(0)
	v_fmac_f64_e32 v[66:67], v[28:29], v[30:31]
	ds_read_b64 v[30:31], v254 offset:728
	v_mul_f64 v[28:29], v[48:49], v[14:15]
	v_mul_f64 v[28:29], v[52:53], v[28:29]
	v_mul_f64 v[12:13], v[70:71], v[12:13]
	v_mul_f64 v[12:13], v[26:27], v[12:13]
	s_waitcnt lgkmcnt(0)
	v_fmac_f64_e32 v[66:67], v[28:29], v[30:31]
	ds_read_b64 v[30:31], v254 offset:736
	v_mul_f64 v[28:29], v[40:41], v[14:15]
	v_mul_f64 v[28:29], v[44:45], v[28:29]
	s_waitcnt lgkmcnt(0)
	v_fmac_f64_e32 v[66:67], v[28:29], v[30:31]
	ds_read_b64 v[30:31], v254 offset:744
	v_mul_f64 v[28:29], v[32:33], v[14:15]
	v_mul_f64 v[28:29], v[36:37], v[28:29]
	v_mul_f64 v[14:15], v[22:23], v[14:15]
	v_mul_f64 v[14:15], v[26:27], v[14:15]
	s_waitcnt lgkmcnt(0)
	v_fmac_f64_e32 v[66:67], v[28:29], v[30:31]
	ds_read_b64 v[28:29], v254 offset:752
	s_waitcnt lgkmcnt(0)
	v_fmac_f64_e32 v[66:67], v[14:15], v[28:29]
	ds_read_b64 v[28:29], v254 offset:760
	v_mul_f64 v[14:15], v[56:57], v[12:13]
	v_mul_f64 v[14:15], v[62:63], v[14:15]
	s_waitcnt lgkmcnt(0)
	v_fmac_f64_e32 v[66:67], v[14:15], v[28:29]
	ds_read_b64 v[28:29], v254 offset:768
	v_mul_f64 v[14:15], v[48:49], v[12:13]
	v_mul_f64 v[14:15], v[52:53], v[14:15]
	;; [unrolled: 5-line block ×4, first 2 shown]
	v_mul_f64 v[12:13], v[22:23], v[12:13]
	v_mul_f64 v[12:13], v[26:27], v[12:13]
	s_waitcnt lgkmcnt(0)
	v_fmac_f64_e32 v[66:67], v[14:15], v[28:29]
	ds_read_b64 v[14:15], v254 offset:792
	s_waitcnt lgkmcnt(0)
	v_fmac_f64_e32 v[66:67], v[12:13], v[14:15]
	ds_read_b64 v[12:13], v126 offset:128
	ds_read_b64 v[14:15], v255 offset:128
	;; [unrolled: 1-line block ×3, first 2 shown]
	s_waitcnt lgkmcnt(1)
	v_mul_f64 v[12:13], v[12:13], v[14:15]
	v_mul_f64 v[10:11], v[10:11], v[12:13]
	;; [unrolled: 1-line block ×5, first 2 shown]
	s_waitcnt lgkmcnt(0)
	v_fmac_f64_e32 v[66:67], v[28:29], v[14:15]
	ds_read_b64 v[28:29], v254 offset:808
	v_mul_f64 v[14:15], v[48:49], v[10:11]
	v_mul_f64 v[14:15], v[52:53], v[14:15]
	v_mul_f64 v[8:9], v[8:9], v[12:13]
	v_mul_f64 v[8:9], v[52:53], v[8:9]
	s_waitcnt lgkmcnt(0)
	v_fmac_f64_e32 v[66:67], v[28:29], v[14:15]
	ds_read_b64 v[28:29], v254 offset:816
	v_mul_f64 v[14:15], v[40:41], v[10:11]
	v_mul_f64 v[14:15], v[44:45], v[14:15]
	v_mul_f64 v[6:7], v[6:7], v[12:13]
	v_mul_f64 v[6:7], v[44:45], v[6:7]
	;; [unrolled: 7-line block ×3, first 2 shown]
	s_waitcnt lgkmcnt(0)
	v_fmac_f64_e32 v[66:67], v[28:29], v[14:15]
	ds_read_b64 v[14:15], v254 offset:832
	v_mul_f64 v[4:5], v[4:5], v[12:13]
	v_mul_f64 v[4:5], v[36:37], v[4:5]
	s_waitcnt lgkmcnt(0)
	v_fmac_f64_e32 v[66:67], v[10:11], v[14:15]
	ds_read_b64 v[14:15], v254 offset:840
	v_mul_f64 v[10:11], v[56:57], v[8:9]
	v_mul_f64 v[10:11], v[62:63], v[10:11]
	;; [unrolled: 5-line block ×5, first 2 shown]
	v_mul_f64 v[8:9], v[22:23], v[8:9]
	v_mul_f64 v[8:9], v[26:27], v[8:9]
	s_waitcnt lgkmcnt(0)
	v_fmac_f64_e32 v[66:67], v[10:11], v[14:15]
	ds_read_b64 v[10:11], v254 offset:872
	s_waitcnt lgkmcnt(0)
	v_fmac_f64_e32 v[66:67], v[8:9], v[10:11]
	ds_read_b64 v[10:11], v254 offset:880
	v_mul_f64 v[8:9], v[56:57], v[6:7]
	v_mul_f64 v[8:9], v[62:63], v[8:9]
	s_waitcnt lgkmcnt(0)
	v_fmac_f64_e32 v[66:67], v[8:9], v[10:11]
	ds_read_b64 v[10:11], v254 offset:888
	v_mul_f64 v[8:9], v[48:49], v[6:7]
	v_mul_f64 v[8:9], v[52:53], v[8:9]
	s_waitcnt lgkmcnt(0)
	v_fmac_f64_e32 v[66:67], v[8:9], v[10:11]
	ds_read_b64 v[10:11], v254 offset:896
	v_mul_f64 v[8:9], v[40:41], v[6:7]
	v_mul_f64 v[8:9], v[44:45], v[8:9]
	s_waitcnt lgkmcnt(0)
	v_fmac_f64_e32 v[66:67], v[8:9], v[10:11]
	ds_read_b64 v[10:11], v254 offset:904
	v_mul_f64 v[8:9], v[32:33], v[6:7]
	v_mul_f64 v[8:9], v[36:37], v[8:9]
	v_mul_f64 v[6:7], v[22:23], v[6:7]
	v_mul_f64 v[6:7], v[26:27], v[6:7]
	s_waitcnt lgkmcnt(0)
	v_fmac_f64_e32 v[66:67], v[8:9], v[10:11]
	ds_read_b64 v[8:9], v254 offset:912
	s_waitcnt lgkmcnt(0)
	v_fmac_f64_e32 v[66:67], v[6:7], v[8:9]
	ds_read_b64 v[8:9], v254 offset:920
	v_mul_f64 v[6:7], v[56:57], v[4:5]
	v_mul_f64 v[6:7], v[62:63], v[6:7]
	s_waitcnt lgkmcnt(0)
	v_fmac_f64_e32 v[66:67], v[6:7], v[8:9]
	ds_read_b64 v[8:9], v254 offset:928
	v_mul_f64 v[6:7], v[48:49], v[4:5]
	v_mul_f64 v[6:7], v[52:53], v[6:7]
	;; [unrolled: 5-line block ×4, first 2 shown]
	v_mul_f64 v[4:5], v[22:23], v[4:5]
	v_mul_f64 v[4:5], v[26:27], v[4:5]
	s_waitcnt lgkmcnt(0)
	v_fmac_f64_e32 v[66:67], v[6:7], v[8:9]
	ds_read_b64 v[6:7], v254 offset:952
	ds_read_b64 v[8:9], v254 offset:960
	s_waitcnt lgkmcnt(1)
	v_fmac_f64_e32 v[66:67], v[4:5], v[6:7]
	v_mul_f64 v[4:5], v[70:71], v[12:13]
	v_mul_f64 v[4:5], v[26:27], v[4:5]
	;; [unrolled: 1-line block ×4, first 2 shown]
	s_waitcnt lgkmcnt(0)
	v_fmac_f64_e32 v[66:67], v[6:7], v[8:9]
	ds_read_b64 v[8:9], v254 offset:968
	v_mul_f64 v[6:7], v[48:49], v[4:5]
	v_mul_f64 v[6:7], v[52:53], v[6:7]
	s_waitcnt lgkmcnt(0)
	v_fmac_f64_e32 v[66:67], v[6:7], v[8:9]
	ds_read_b64 v[8:9], v254 offset:976
	v_mul_f64 v[6:7], v[40:41], v[4:5]
	v_mul_f64 v[6:7], v[44:45], v[6:7]
	;; [unrolled: 5-line block ×3, first 2 shown]
	v_mul_f64 v[4:5], v[22:23], v[4:5]
	v_mul_f64 v[4:5], v[26:27], v[4:5]
	s_waitcnt lgkmcnt(0)
	v_fmac_f64_e32 v[66:67], v[6:7], v[8:9]
	ds_read_b64 v[6:7], v254 offset:992
	s_waitcnt lgkmcnt(0)
	v_fmac_f64_e32 v[66:67], v[4:5], v[6:7]
	global_store_dwordx2 v[158:159], v[66:67], off
	ds_read2_b64 v[114:117], v254 offset0:128 offset1:129
	ds_read_b64 v[40:41], v125
	ds_read_b64 v[36:37], v125 offset:32
	ds_read2_b64 v[110:113], v254 offset0:132 offset1:133
	ds_read_b64 v[32:33], v125 offset:64
	ds_read2_b64 v[104:107], v254 offset0:136 offset1:137
	;; [unrolled: 2-line block ×4, first 2 shown]
	ds_read_b64 v[10:11], v124
	ds_read_b64 v[8:9], v124 offset:32
	ds_read_b64 v[6:7], v124 offset:64
	;; [unrolled: 1-line block ×4, first 2 shown]
	ds_read_b64 v[12:13], v126
	ds_read_b64 v[14:15], v126 offset:32
	ds_read_b64 v[28:29], v255
	ds_read_b64 v[30:31], v255 offset:32
	;; [unrolled: 2-line block ×3, first 2 shown]
	ds_read_b64 v[62:63], v254 offset:16
	ds_read_b64 v[66:67], v254 offset:24
	ds_read_b64 v[70:71], v254 offset:32
	ds_read_b64 v[74:75], v254 offset:40
	ds_read_b64 v[78:79], v254 offset:48
	ds_read_b64 v[84:85], v254 offset:56
	s_waitcnt lgkmcnt(9)
	v_mul_f64 v[12:13], v[12:13], v[28:29]
	v_mul_f64 v[28:29], v[10:11], v[12:13]
	;; [unrolled: 1-line block ×5, first 2 shown]
	s_waitcnt lgkmcnt(7)
	v_fma_f64 v[44:45], v[52:53], v[44:45], 0
	v_mul_f64 v[52:53], v[36:37], v[28:29]
	v_mul_f64 v[52:53], v[112:113], v[52:53]
	s_waitcnt lgkmcnt(6)
	v_fmac_f64_e32 v[44:45], v[56:57], v[52:53]
	v_mul_f64 v[52:53], v[32:33], v[28:29]
	v_mul_f64 v[52:53], v[106:107], v[52:53]
	s_waitcnt lgkmcnt(5)
	v_fmac_f64_e32 v[44:45], v[62:63], v[52:53]
	v_mul_f64 v[52:53], v[26:27], v[28:29]
	v_mul_f64 v[52:53], v[102:103], v[52:53]
	;; [unrolled: 1-line block ×3, first 2 shown]
	s_waitcnt lgkmcnt(4)
	v_fmac_f64_e32 v[44:45], v[66:67], v[52:53]
	v_mul_f64 v[28:29], v[94:95], v[28:29]
	s_waitcnt lgkmcnt(3)
	v_fmac_f64_e32 v[44:45], v[28:29], v[70:71]
	v_mul_f64 v[28:29], v[8:9], v[12:13]
	v_mul_f64 v[28:29], v[110:111], v[28:29]
	;; [unrolled: 1-line block ×4, first 2 shown]
	s_waitcnt lgkmcnt(2)
	v_fmac_f64_e32 v[44:45], v[52:53], v[74:75]
	v_mul_f64 v[52:53], v[36:37], v[28:29]
	v_mul_f64 v[52:53], v[112:113], v[52:53]
	ds_read_b64 v[56:57], v254 offset:64
	s_waitcnt lgkmcnt(2)
	v_fmac_f64_e32 v[44:45], v[52:53], v[78:79]
	v_mul_f64 v[52:53], v[32:33], v[28:29]
	v_mul_f64 v[52:53], v[106:107], v[52:53]
	s_waitcnt lgkmcnt(1)
	v_fmac_f64_e32 v[44:45], v[52:53], v[84:85]
	v_mul_f64 v[52:53], v[26:27], v[28:29]
	v_mul_f64 v[52:53], v[102:103], v[52:53]
	s_waitcnt lgkmcnt(0)
	v_fmac_f64_e32 v[44:45], v[52:53], v[56:57]
	ds_read_b64 v[52:53], v254 offset:72
	ds_read_b64 v[56:57], v254 offset:80
	v_mul_f64 v[28:29], v[22:23], v[28:29]
	v_mul_f64 v[28:29], v[94:95], v[28:29]
	s_waitcnt lgkmcnt(1)
	v_fmac_f64_e32 v[44:45], v[28:29], v[52:53]
	v_mul_f64 v[28:29], v[6:7], v[12:13]
	v_mul_f64 v[28:29], v[104:105], v[28:29]
	;; [unrolled: 1-line block ×4, first 2 shown]
	s_waitcnt lgkmcnt(0)
	v_fmac_f64_e32 v[44:45], v[52:53], v[56:57]
	ds_read_b64 v[56:57], v254 offset:88
	v_mul_f64 v[52:53], v[36:37], v[28:29]
	v_mul_f64 v[52:53], v[112:113], v[52:53]
	s_waitcnt lgkmcnt(0)
	v_fmac_f64_e32 v[44:45], v[52:53], v[56:57]
	ds_read_b64 v[56:57], v254 offset:96
	v_mul_f64 v[52:53], v[32:33], v[28:29]
	v_mul_f64 v[52:53], v[106:107], v[52:53]
	;; [unrolled: 5-line block ×3, first 2 shown]
	v_mul_f64 v[28:29], v[22:23], v[28:29]
	v_mul_f64 v[28:29], v[94:95], v[28:29]
	s_waitcnt lgkmcnt(0)
	v_fmac_f64_e32 v[44:45], v[52:53], v[56:57]
	ds_read_b64 v[52:53], v254 offset:112
	ds_read_b64 v[56:57], v254 offset:120
	s_waitcnt lgkmcnt(1)
	v_fmac_f64_e32 v[44:45], v[28:29], v[52:53]
	v_mul_f64 v[28:29], v[4:5], v[12:13]
	v_mul_f64 v[28:29], v[100:101], v[28:29]
	;; [unrolled: 1-line block ×4, first 2 shown]
	s_waitcnt lgkmcnt(0)
	v_fmac_f64_e32 v[44:45], v[52:53], v[56:57]
	ds_read_b64 v[56:57], v254 offset:128
	v_mul_f64 v[52:53], v[36:37], v[28:29]
	v_mul_f64 v[52:53], v[112:113], v[52:53]
	;; [unrolled: 1-line block ×4, first 2 shown]
	s_waitcnt lgkmcnt(0)
	v_fmac_f64_e32 v[44:45], v[52:53], v[56:57]
	ds_read_b64 v[56:57], v254 offset:136
	v_mul_f64 v[52:53], v[32:33], v[28:29]
	v_mul_f64 v[52:53], v[106:107], v[52:53]
	s_waitcnt lgkmcnt(0)
	v_fmac_f64_e32 v[44:45], v[52:53], v[56:57]
	ds_read_b64 v[56:57], v254 offset:144
	v_mul_f64 v[52:53], v[26:27], v[28:29]
	v_mul_f64 v[52:53], v[102:103], v[52:53]
	;; [unrolled: 1-line block ×4, first 2 shown]
	s_waitcnt lgkmcnt(0)
	v_fmac_f64_e32 v[44:45], v[52:53], v[56:57]
	ds_read_b64 v[52:53], v254 offset:152
	s_waitcnt lgkmcnt(0)
	v_fmac_f64_e32 v[44:45], v[28:29], v[52:53]
	ds_read_b64 v[52:53], v254 offset:160
	v_mul_f64 v[28:29], v[40:41], v[12:13]
	v_mul_f64 v[28:29], v[116:117], v[28:29]
	s_waitcnt lgkmcnt(0)
	v_fmac_f64_e32 v[44:45], v[28:29], v[52:53]
	ds_read_b64 v[52:53], v254 offset:168
	v_mul_f64 v[28:29], v[36:37], v[12:13]
	v_mul_f64 v[28:29], v[112:113], v[28:29]
	;; [unrolled: 5-line block ×4, first 2 shown]
	v_mul_f64 v[12:13], v[22:23], v[12:13]
	v_mul_f64 v[12:13], v[94:95], v[12:13]
	s_waitcnt lgkmcnt(0)
	v_fmac_f64_e32 v[44:45], v[28:29], v[52:53]
	ds_read_b64 v[28:29], v254 offset:192
	s_waitcnt lgkmcnt(0)
	v_fmac_f64_e32 v[44:45], v[12:13], v[28:29]
	v_mul_f64 v[12:13], v[14:15], v[30:31]
	ds_read_b64 v[30:31], v254 offset:200
	v_mul_f64 v[14:15], v[10:11], v[12:13]
	v_mul_f64 v[14:15], v[114:115], v[14:15]
	v_mul_f64 v[28:29], v[40:41], v[14:15]
	v_mul_f64 v[28:29], v[116:117], v[28:29]
	s_waitcnt lgkmcnt(0)
	v_fmac_f64_e32 v[44:45], v[30:31], v[28:29]
	ds_read_b64 v[30:31], v254 offset:208
	v_mul_f64 v[28:29], v[36:37], v[14:15]
	v_mul_f64 v[28:29], v[112:113], v[28:29]
	s_waitcnt lgkmcnt(0)
	v_fmac_f64_e32 v[44:45], v[30:31], v[28:29]
	ds_read_b64 v[30:31], v254 offset:216
	v_mul_f64 v[28:29], v[32:33], v[14:15]
	v_mul_f64 v[28:29], v[106:107], v[28:29]
	s_waitcnt lgkmcnt(0)
	v_fmac_f64_e32 v[44:45], v[30:31], v[28:29]
	ds_read_b64 v[30:31], v254 offset:224
	v_mul_f64 v[28:29], v[26:27], v[14:15]
	v_mul_f64 v[28:29], v[102:103], v[28:29]
	v_mul_f64 v[14:15], v[22:23], v[14:15]
	v_mul_f64 v[14:15], v[94:95], v[14:15]
	s_waitcnt lgkmcnt(0)
	v_fmac_f64_e32 v[44:45], v[30:31], v[28:29]
	ds_read_b64 v[28:29], v254 offset:232
	ds_read_b64 v[30:31], v254 offset:240
	s_waitcnt lgkmcnt(1)
	v_fmac_f64_e32 v[44:45], v[14:15], v[28:29]
	v_mul_f64 v[14:15], v[8:9], v[12:13]
	v_mul_f64 v[14:15], v[110:111], v[14:15]
	v_mul_f64 v[28:29], v[40:41], v[14:15]
	v_mul_f64 v[28:29], v[116:117], v[28:29]
	s_waitcnt lgkmcnt(0)
	v_fmac_f64_e32 v[44:45], v[28:29], v[30:31]
	ds_read_b64 v[30:31], v254 offset:248
	v_mul_f64 v[28:29], v[36:37], v[14:15]
	v_mul_f64 v[28:29], v[112:113], v[28:29]
	s_waitcnt lgkmcnt(0)
	v_fmac_f64_e32 v[44:45], v[28:29], v[30:31]
	ds_read_b64 v[30:31], v254 offset:256
	v_mul_f64 v[28:29], v[32:33], v[14:15]
	v_mul_f64 v[28:29], v[106:107], v[28:29]
	s_waitcnt lgkmcnt(0)
	v_fmac_f64_e32 v[44:45], v[28:29], v[30:31]
	ds_read_b64 v[30:31], v254 offset:264
	v_mul_f64 v[28:29], v[26:27], v[14:15]
	v_mul_f64 v[28:29], v[102:103], v[28:29]
	v_mul_f64 v[14:15], v[22:23], v[14:15]
	v_mul_f64 v[14:15], v[94:95], v[14:15]
	s_waitcnt lgkmcnt(0)
	v_fmac_f64_e32 v[44:45], v[28:29], v[30:31]
	ds_read_b64 v[28:29], v254 offset:272
	ds_read_b64 v[30:31], v254 offset:280
	s_waitcnt lgkmcnt(1)
	v_fmac_f64_e32 v[44:45], v[14:15], v[28:29]
	;; [unrolled: 27-line block ×3, first 2 shown]
	v_mul_f64 v[14:15], v[4:5], v[12:13]
	v_mul_f64 v[14:15], v[100:101], v[14:15]
	;; [unrolled: 1-line block ×4, first 2 shown]
	s_waitcnt lgkmcnt(0)
	v_fmac_f64_e32 v[44:45], v[28:29], v[30:31]
	ds_read_b64 v[30:31], v254 offset:328
	v_mul_f64 v[28:29], v[36:37], v[14:15]
	v_mul_f64 v[28:29], v[112:113], v[28:29]
	;; [unrolled: 1-line block ×4, first 2 shown]
	s_waitcnt lgkmcnt(0)
	v_fmac_f64_e32 v[44:45], v[28:29], v[30:31]
	ds_read_b64 v[30:31], v254 offset:336
	v_mul_f64 v[28:29], v[32:33], v[14:15]
	v_mul_f64 v[28:29], v[106:107], v[28:29]
	s_waitcnt lgkmcnt(0)
	v_fmac_f64_e32 v[44:45], v[28:29], v[30:31]
	ds_read_b64 v[30:31], v254 offset:344
	v_mul_f64 v[28:29], v[26:27], v[14:15]
	v_mul_f64 v[28:29], v[102:103], v[28:29]
	;; [unrolled: 1-line block ×4, first 2 shown]
	s_waitcnt lgkmcnt(0)
	v_fmac_f64_e32 v[44:45], v[28:29], v[30:31]
	ds_read_b64 v[28:29], v254 offset:352
	s_waitcnt lgkmcnt(0)
	v_fmac_f64_e32 v[44:45], v[14:15], v[28:29]
	ds_read_b64 v[28:29], v254 offset:360
	v_mul_f64 v[14:15], v[40:41], v[12:13]
	v_mul_f64 v[14:15], v[116:117], v[14:15]
	s_waitcnt lgkmcnt(0)
	v_fmac_f64_e32 v[44:45], v[14:15], v[28:29]
	ds_read_b64 v[28:29], v254 offset:368
	v_mul_f64 v[14:15], v[36:37], v[12:13]
	v_mul_f64 v[14:15], v[112:113], v[14:15]
	;; [unrolled: 5-line block ×4, first 2 shown]
	v_mul_f64 v[12:13], v[22:23], v[12:13]
	v_mul_f64 v[12:13], v[94:95], v[12:13]
	s_waitcnt lgkmcnt(0)
	v_fmac_f64_e32 v[44:45], v[14:15], v[28:29]
	ds_read_b64 v[14:15], v254 offset:392
	s_waitcnt lgkmcnt(0)
	v_fmac_f64_e32 v[44:45], v[12:13], v[14:15]
	ds_read_b64 v[12:13], v126 offset:64
	ds_read_b64 v[14:15], v255 offset:64
	;; [unrolled: 1-line block ×3, first 2 shown]
	s_waitcnt lgkmcnt(1)
	v_mul_f64 v[12:13], v[12:13], v[14:15]
	v_mul_f64 v[14:15], v[10:11], v[12:13]
	;; [unrolled: 1-line block ×5, first 2 shown]
	s_waitcnt lgkmcnt(0)
	v_fmac_f64_e32 v[44:45], v[30:31], v[28:29]
	ds_read_b64 v[30:31], v254 offset:408
	v_mul_f64 v[28:29], v[36:37], v[14:15]
	v_mul_f64 v[28:29], v[112:113], v[28:29]
	s_waitcnt lgkmcnt(0)
	v_fmac_f64_e32 v[44:45], v[30:31], v[28:29]
	ds_read_b64 v[30:31], v254 offset:416
	v_mul_f64 v[28:29], v[32:33], v[14:15]
	v_mul_f64 v[28:29], v[106:107], v[28:29]
	s_waitcnt lgkmcnt(0)
	v_fmac_f64_e32 v[44:45], v[30:31], v[28:29]
	ds_read_b64 v[30:31], v254 offset:424
	v_mul_f64 v[28:29], v[26:27], v[14:15]
	v_mul_f64 v[28:29], v[102:103], v[28:29]
	v_mul_f64 v[14:15], v[22:23], v[14:15]
	v_mul_f64 v[14:15], v[94:95], v[14:15]
	s_waitcnt lgkmcnt(0)
	v_fmac_f64_e32 v[44:45], v[30:31], v[28:29]
	ds_read_b64 v[28:29], v254 offset:432
	ds_read_b64 v[30:31], v254 offset:440
	s_waitcnt lgkmcnt(1)
	v_fmac_f64_e32 v[44:45], v[14:15], v[28:29]
	v_mul_f64 v[14:15], v[8:9], v[12:13]
	v_mul_f64 v[14:15], v[110:111], v[14:15]
	v_mul_f64 v[28:29], v[40:41], v[14:15]
	v_mul_f64 v[28:29], v[116:117], v[28:29]
	s_waitcnt lgkmcnt(0)
	v_fmac_f64_e32 v[44:45], v[28:29], v[30:31]
	ds_read_b64 v[30:31], v254 offset:448
	v_mul_f64 v[28:29], v[36:37], v[14:15]
	v_mul_f64 v[28:29], v[112:113], v[28:29]
	s_waitcnt lgkmcnt(0)
	v_fmac_f64_e32 v[44:45], v[28:29], v[30:31]
	ds_read_b64 v[30:31], v254 offset:456
	v_mul_f64 v[28:29], v[32:33], v[14:15]
	v_mul_f64 v[28:29], v[106:107], v[28:29]
	s_waitcnt lgkmcnt(0)
	v_fmac_f64_e32 v[44:45], v[28:29], v[30:31]
	ds_read_b64 v[30:31], v254 offset:464
	v_mul_f64 v[28:29], v[26:27], v[14:15]
	v_mul_f64 v[28:29], v[102:103], v[28:29]
	v_mul_f64 v[14:15], v[22:23], v[14:15]
	v_mul_f64 v[14:15], v[94:95], v[14:15]
	s_waitcnt lgkmcnt(0)
	v_fmac_f64_e32 v[44:45], v[28:29], v[30:31]
	ds_read_b64 v[28:29], v254 offset:472
	ds_read_b64 v[30:31], v254 offset:480
	s_waitcnt lgkmcnt(1)
	v_fmac_f64_e32 v[44:45], v[14:15], v[28:29]
	v_mul_f64 v[14:15], v[6:7], v[12:13]
	v_mul_f64 v[14:15], v[104:105], v[14:15]
	v_mul_f64 v[28:29], v[40:41], v[14:15]
	v_mul_f64 v[28:29], v[116:117], v[28:29]
	;; [unrolled: 27-line block ×3, first 2 shown]
	s_waitcnt lgkmcnt(0)
	v_fmac_f64_e32 v[44:45], v[28:29], v[30:31]
	ds_read_b64 v[30:31], v254 offset:528
	v_mul_f64 v[28:29], v[36:37], v[14:15]
	v_mul_f64 v[28:29], v[112:113], v[28:29]
	;; [unrolled: 1-line block ×4, first 2 shown]
	s_waitcnt lgkmcnt(0)
	v_fmac_f64_e32 v[44:45], v[28:29], v[30:31]
	ds_read_b64 v[30:31], v254 offset:536
	v_mul_f64 v[28:29], v[32:33], v[14:15]
	v_mul_f64 v[28:29], v[106:107], v[28:29]
	s_waitcnt lgkmcnt(0)
	v_fmac_f64_e32 v[44:45], v[28:29], v[30:31]
	ds_read_b64 v[30:31], v254 offset:544
	v_mul_f64 v[28:29], v[26:27], v[14:15]
	v_mul_f64 v[28:29], v[102:103], v[28:29]
	;; [unrolled: 1-line block ×4, first 2 shown]
	s_waitcnt lgkmcnt(0)
	v_fmac_f64_e32 v[44:45], v[28:29], v[30:31]
	ds_read_b64 v[28:29], v254 offset:552
	s_waitcnt lgkmcnt(0)
	v_fmac_f64_e32 v[44:45], v[14:15], v[28:29]
	ds_read_b64 v[28:29], v254 offset:560
	v_mul_f64 v[14:15], v[40:41], v[12:13]
	v_mul_f64 v[14:15], v[116:117], v[14:15]
	s_waitcnt lgkmcnt(0)
	v_fmac_f64_e32 v[44:45], v[14:15], v[28:29]
	ds_read_b64 v[28:29], v254 offset:568
	v_mul_f64 v[14:15], v[36:37], v[12:13]
	v_mul_f64 v[14:15], v[112:113], v[14:15]
	;; [unrolled: 5-line block ×4, first 2 shown]
	v_mul_f64 v[12:13], v[22:23], v[12:13]
	v_mul_f64 v[12:13], v[94:95], v[12:13]
	s_waitcnt lgkmcnt(0)
	v_fmac_f64_e32 v[44:45], v[14:15], v[28:29]
	ds_read_b64 v[14:15], v254 offset:592
	s_waitcnt lgkmcnt(0)
	v_fmac_f64_e32 v[44:45], v[12:13], v[14:15]
	ds_read_b64 v[12:13], v126 offset:96
	ds_read_b64 v[14:15], v255 offset:96
	;; [unrolled: 1-line block ×3, first 2 shown]
	s_waitcnt lgkmcnt(1)
	v_mul_f64 v[12:13], v[12:13], v[14:15]
	v_mul_f64 v[14:15], v[10:11], v[12:13]
	;; [unrolled: 1-line block ×5, first 2 shown]
	s_waitcnt lgkmcnt(0)
	v_fmac_f64_e32 v[44:45], v[30:31], v[28:29]
	ds_read_b64 v[30:31], v254 offset:608
	v_mul_f64 v[28:29], v[36:37], v[14:15]
	v_mul_f64 v[28:29], v[112:113], v[28:29]
	s_waitcnt lgkmcnt(0)
	v_fmac_f64_e32 v[44:45], v[30:31], v[28:29]
	ds_read_b64 v[30:31], v254 offset:616
	v_mul_f64 v[28:29], v[32:33], v[14:15]
	v_mul_f64 v[28:29], v[106:107], v[28:29]
	s_waitcnt lgkmcnt(0)
	v_fmac_f64_e32 v[44:45], v[30:31], v[28:29]
	ds_read_b64 v[30:31], v254 offset:624
	v_mul_f64 v[28:29], v[26:27], v[14:15]
	v_mul_f64 v[28:29], v[102:103], v[28:29]
	v_mul_f64 v[14:15], v[22:23], v[14:15]
	v_mul_f64 v[14:15], v[94:95], v[14:15]
	s_waitcnt lgkmcnt(0)
	v_fmac_f64_e32 v[44:45], v[30:31], v[28:29]
	ds_read_b64 v[28:29], v254 offset:632
	ds_read_b64 v[30:31], v254 offset:640
	s_waitcnt lgkmcnt(1)
	v_fmac_f64_e32 v[44:45], v[14:15], v[28:29]
	v_mul_f64 v[14:15], v[8:9], v[12:13]
	v_mul_f64 v[14:15], v[110:111], v[14:15]
	v_mul_f64 v[28:29], v[40:41], v[14:15]
	v_mul_f64 v[28:29], v[116:117], v[28:29]
	s_waitcnt lgkmcnt(0)
	v_fmac_f64_e32 v[44:45], v[28:29], v[30:31]
	ds_read_b64 v[30:31], v254 offset:648
	v_mul_f64 v[28:29], v[36:37], v[14:15]
	v_mul_f64 v[28:29], v[112:113], v[28:29]
	s_waitcnt lgkmcnt(0)
	v_fmac_f64_e32 v[44:45], v[28:29], v[30:31]
	ds_read_b64 v[30:31], v254 offset:656
	v_mul_f64 v[28:29], v[32:33], v[14:15]
	v_mul_f64 v[28:29], v[106:107], v[28:29]
	s_waitcnt lgkmcnt(0)
	v_fmac_f64_e32 v[44:45], v[28:29], v[30:31]
	ds_read_b64 v[30:31], v254 offset:664
	v_mul_f64 v[28:29], v[26:27], v[14:15]
	v_mul_f64 v[28:29], v[102:103], v[28:29]
	v_mul_f64 v[14:15], v[22:23], v[14:15]
	v_mul_f64 v[14:15], v[94:95], v[14:15]
	s_waitcnt lgkmcnt(0)
	v_fmac_f64_e32 v[44:45], v[28:29], v[30:31]
	ds_read_b64 v[28:29], v254 offset:672
	ds_read_b64 v[30:31], v254 offset:680
	s_waitcnt lgkmcnt(1)
	v_fmac_f64_e32 v[44:45], v[14:15], v[28:29]
	v_mul_f64 v[14:15], v[6:7], v[12:13]
	v_mul_f64 v[14:15], v[104:105], v[14:15]
	v_mul_f64 v[28:29], v[40:41], v[14:15]
	v_mul_f64 v[28:29], v[116:117], v[28:29]
	s_waitcnt lgkmcnt(0)
	v_fmac_f64_e32 v[44:45], v[28:29], v[30:31]
	ds_read_b64 v[30:31], v254 offset:688
	v_mul_f64 v[28:29], v[36:37], v[14:15]
	v_mul_f64 v[28:29], v[112:113], v[28:29]
	s_waitcnt lgkmcnt(0)
	v_fmac_f64_e32 v[44:45], v[28:29], v[30:31]
	ds_read_b64 v[30:31], v254 offset:696
	v_mul_f64 v[28:29], v[32:33], v[14:15]
	v_mul_f64 v[28:29], v[106:107], v[28:29]
	s_waitcnt lgkmcnt(0)
	v_fmac_f64_e32 v[44:45], v[28:29], v[30:31]
	ds_read_b64 v[30:31], v254 offset:704
	v_mul_f64 v[28:29], v[26:27], v[14:15]
	v_mul_f64 v[28:29], v[102:103], v[28:29]
	v_mul_f64 v[14:15], v[22:23], v[14:15]
	v_mul_f64 v[14:15], v[94:95], v[14:15]
	s_waitcnt lgkmcnt(0)
	v_fmac_f64_e32 v[44:45], v[28:29], v[30:31]
	ds_read_b64 v[28:29], v254 offset:712
	ds_read_b64 v[30:31], v254 offset:720
	s_waitcnt lgkmcnt(1)
	v_fmac_f64_e32 v[44:45], v[14:15], v[28:29]
	v_mul_f64 v[14:15], v[4:5], v[12:13]
	v_mul_f64 v[14:15], v[100:101], v[14:15]
	v_mul_f64 v[28:29], v[40:41], v[14:15]
	v_mul_f64 v[28:29], v[116:117], v[28:29]
	s_waitcnt lgkmcnt(0)
	v_fmac_f64_e32 v[44:45], v[28:29], v[30:31]
	ds_read_b64 v[30:31], v254 offset:728
	v_mul_f64 v[28:29], v[36:37], v[14:15]
	v_mul_f64 v[28:29], v[112:113], v[28:29]
	;; [unrolled: 1-line block ×4, first 2 shown]
	s_waitcnt lgkmcnt(0)
	v_fmac_f64_e32 v[44:45], v[28:29], v[30:31]
	ds_read_b64 v[30:31], v254 offset:736
	v_mul_f64 v[28:29], v[32:33], v[14:15]
	v_mul_f64 v[28:29], v[106:107], v[28:29]
	s_waitcnt lgkmcnt(0)
	v_fmac_f64_e32 v[44:45], v[28:29], v[30:31]
	ds_read_b64 v[30:31], v254 offset:744
	v_mul_f64 v[28:29], v[26:27], v[14:15]
	v_mul_f64 v[28:29], v[102:103], v[28:29]
	;; [unrolled: 1-line block ×4, first 2 shown]
	s_waitcnt lgkmcnt(0)
	v_fmac_f64_e32 v[44:45], v[28:29], v[30:31]
	ds_read_b64 v[28:29], v254 offset:752
	s_waitcnt lgkmcnt(0)
	v_fmac_f64_e32 v[44:45], v[14:15], v[28:29]
	ds_read_b64 v[28:29], v254 offset:760
	v_mul_f64 v[14:15], v[40:41], v[12:13]
	v_mul_f64 v[14:15], v[116:117], v[14:15]
	s_waitcnt lgkmcnt(0)
	v_fmac_f64_e32 v[44:45], v[14:15], v[28:29]
	ds_read_b64 v[28:29], v254 offset:768
	v_mul_f64 v[14:15], v[36:37], v[12:13]
	v_mul_f64 v[14:15], v[112:113], v[14:15]
	;; [unrolled: 5-line block ×4, first 2 shown]
	v_mul_f64 v[12:13], v[22:23], v[12:13]
	v_mul_f64 v[12:13], v[94:95], v[12:13]
	s_waitcnt lgkmcnt(0)
	v_fmac_f64_e32 v[44:45], v[14:15], v[28:29]
	ds_read_b64 v[14:15], v254 offset:792
	s_waitcnt lgkmcnt(0)
	v_fmac_f64_e32 v[44:45], v[12:13], v[14:15]
	ds_read_b64 v[12:13], v126 offset:128
	ds_read_b64 v[14:15], v255 offset:128
	;; [unrolled: 1-line block ×3, first 2 shown]
	s_waitcnt lgkmcnt(1)
	v_mul_f64 v[12:13], v[12:13], v[14:15]
	v_mul_f64 v[10:11], v[10:11], v[12:13]
	;; [unrolled: 1-line block ×5, first 2 shown]
	s_waitcnt lgkmcnt(0)
	v_fmac_f64_e32 v[44:45], v[28:29], v[14:15]
	ds_read_b64 v[28:29], v254 offset:808
	v_mul_f64 v[14:15], v[36:37], v[10:11]
	v_mul_f64 v[14:15], v[112:113], v[14:15]
	v_mul_f64 v[8:9], v[8:9], v[12:13]
	v_mul_f64 v[8:9], v[110:111], v[8:9]
	s_waitcnt lgkmcnt(0)
	v_fmac_f64_e32 v[44:45], v[28:29], v[14:15]
	ds_read_b64 v[28:29], v254 offset:816
	v_mul_f64 v[14:15], v[32:33], v[10:11]
	v_mul_f64 v[14:15], v[106:107], v[14:15]
	v_mul_f64 v[6:7], v[6:7], v[12:13]
	v_mul_f64 v[6:7], v[104:105], v[6:7]
	;; [unrolled: 7-line block ×3, first 2 shown]
	s_waitcnt lgkmcnt(0)
	v_fmac_f64_e32 v[44:45], v[28:29], v[14:15]
	ds_read_b64 v[14:15], v254 offset:832
	v_mul_f64 v[4:5], v[4:5], v[12:13]
	v_mul_f64 v[4:5], v[100:101], v[4:5]
	s_waitcnt lgkmcnt(0)
	v_fmac_f64_e32 v[44:45], v[10:11], v[14:15]
	ds_read_b64 v[14:15], v254 offset:840
	v_mul_f64 v[10:11], v[40:41], v[8:9]
	v_mul_f64 v[10:11], v[116:117], v[10:11]
	;; [unrolled: 5-line block ×5, first 2 shown]
	v_mul_f64 v[8:9], v[22:23], v[8:9]
	v_mul_f64 v[8:9], v[94:95], v[8:9]
	s_waitcnt lgkmcnt(0)
	v_fmac_f64_e32 v[44:45], v[10:11], v[14:15]
	ds_read_b64 v[10:11], v254 offset:872
	s_waitcnt lgkmcnt(0)
	v_fmac_f64_e32 v[44:45], v[8:9], v[10:11]
	ds_read_b64 v[10:11], v254 offset:880
	v_mul_f64 v[8:9], v[40:41], v[6:7]
	v_mul_f64 v[8:9], v[116:117], v[8:9]
	s_waitcnt lgkmcnt(0)
	v_fmac_f64_e32 v[44:45], v[8:9], v[10:11]
	ds_read_b64 v[10:11], v254 offset:888
	v_mul_f64 v[8:9], v[36:37], v[6:7]
	v_mul_f64 v[8:9], v[112:113], v[8:9]
	;; [unrolled: 5-line block ×4, first 2 shown]
	v_mul_f64 v[6:7], v[22:23], v[6:7]
	v_mul_f64 v[6:7], v[94:95], v[6:7]
	s_waitcnt lgkmcnt(0)
	v_fmac_f64_e32 v[44:45], v[8:9], v[10:11]
	ds_read_b64 v[8:9], v254 offset:912
	s_waitcnt lgkmcnt(0)
	v_fmac_f64_e32 v[44:45], v[6:7], v[8:9]
	ds_read_b64 v[8:9], v254 offset:920
	v_mul_f64 v[6:7], v[40:41], v[4:5]
	v_mul_f64 v[6:7], v[116:117], v[6:7]
	s_waitcnt lgkmcnt(0)
	v_fmac_f64_e32 v[44:45], v[6:7], v[8:9]
	ds_read_b64 v[8:9], v254 offset:928
	v_mul_f64 v[6:7], v[36:37], v[4:5]
	v_mul_f64 v[6:7], v[112:113], v[6:7]
	;; [unrolled: 5-line block ×4, first 2 shown]
	v_mul_f64 v[4:5], v[22:23], v[4:5]
	v_mul_f64 v[4:5], v[94:95], v[4:5]
	s_waitcnt lgkmcnt(0)
	v_fmac_f64_e32 v[44:45], v[6:7], v[8:9]
	ds_read_b64 v[6:7], v254 offset:952
	ds_read_b64 v[8:9], v254 offset:960
	s_waitcnt lgkmcnt(1)
	v_fmac_f64_e32 v[44:45], v[4:5], v[6:7]
	v_mul_f64 v[4:5], v[48:49], v[12:13]
	v_mul_f64 v[4:5], v[92:93], v[4:5]
	;; [unrolled: 1-line block ×4, first 2 shown]
	s_waitcnt lgkmcnt(0)
	v_fmac_f64_e32 v[44:45], v[6:7], v[8:9]
	ds_read_b64 v[8:9], v254 offset:968
	v_mul_f64 v[6:7], v[36:37], v[4:5]
	v_mul_f64 v[6:7], v[112:113], v[6:7]
	s_waitcnt lgkmcnt(0)
	v_fmac_f64_e32 v[44:45], v[6:7], v[8:9]
	ds_read_b64 v[8:9], v254 offset:976
	v_mul_f64 v[6:7], v[32:33], v[4:5]
	v_mul_f64 v[6:7], v[106:107], v[6:7]
	;; [unrolled: 5-line block ×3, first 2 shown]
	v_mul_f64 v[4:5], v[22:23], v[4:5]
	v_mul_f64 v[4:5], v[94:95], v[4:5]
	s_waitcnt lgkmcnt(0)
	v_fmac_f64_e32 v[44:45], v[6:7], v[8:9]
	ds_read_b64 v[6:7], v254 offset:992
	s_waitcnt lgkmcnt(0)
	v_fmac_f64_e32 v[44:45], v[4:5], v[6:7]
	global_store_dwordx2 v[214:215], v[44:45], off
	ds_read_b64 v[40:41], v125
	ds_read_b64 v[36:37], v125 offset:32
	ds_read_b64 v[32:33], v125 offset:64
	;; [unrolled: 1-line block ×4, first 2 shown]
	ds_read_b64 v[28:29], v124
	ds_read_b64 v[30:31], v254 offset:1032
	ds_read_b64 v[12:13], v124 offset:32
	;; [unrolled: 1-line block ×9, first 2 shown]
	ds_read_b64 v[44:45], v126
	ds_read_b64 v[56:57], v126 offset:32
	ds_read_b64 v[62:63], v255
	ds_read_b64 v[66:67], v255 offset:32
	;; [unrolled: 2-line block ×3, first 2 shown]
	ds_read_b64 v[84:85], v254 offset:16
	ds_read_b64 v[88:89], v254 offset:24
	;; [unrolled: 1-line block ×6, first 2 shown]
	s_waitcnt lgkmcnt(9)
	v_mul_f64 v[62:63], v[44:45], v[62:63]
	v_mul_f64 v[44:45], v[28:29], v[62:63]
	v_mul_f64 v[70:71], v[30:31], v[44:45]
	v_mul_f64 v[44:45], v[40:41], v[70:71]
	v_mul_f64 v[44:45], v[80:81], v[44:45]
	s_waitcnt lgkmcnt(7)
	v_fma_f64 v[44:45], v[74:75], v[44:45], 0
	v_mul_f64 v[74:75], v[36:37], v[70:71]
	v_mul_f64 v[74:75], v[76:77], v[74:75]
	s_waitcnt lgkmcnt(6)
	v_fmac_f64_e32 v[44:45], v[78:79], v[74:75]
	v_mul_f64 v[74:75], v[32:33], v[70:71]
	v_mul_f64 v[74:75], v[72:73], v[74:75]
	s_waitcnt lgkmcnt(5)
	v_fmac_f64_e32 v[44:45], v[84:85], v[74:75]
	v_mul_f64 v[74:75], v[26:27], v[70:71]
	v_mul_f64 v[74:75], v[68:69], v[74:75]
	;; [unrolled: 1-line block ×3, first 2 shown]
	s_waitcnt lgkmcnt(4)
	v_fmac_f64_e32 v[44:45], v[88:89], v[74:75]
	v_mul_f64 v[70:71], v[64:65], v[70:71]
	s_waitcnt lgkmcnt(3)
	v_fmac_f64_e32 v[44:45], v[70:71], v[92:93]
	v_mul_f64 v[70:71], v[12:13], v[62:63]
	v_mul_f64 v[70:71], v[14:15], v[70:71]
	v_mul_f64 v[74:75], v[40:41], v[70:71]
	v_mul_f64 v[74:75], v[80:81], v[74:75]
	s_waitcnt lgkmcnt(2)
	v_fmac_f64_e32 v[44:45], v[74:75], v[94:95]
	v_mul_f64 v[74:75], v[36:37], v[70:71]
	v_mul_f64 v[74:75], v[76:77], v[74:75]
	ds_read_b64 v[78:79], v254 offset:64
	s_waitcnt lgkmcnt(2)
	v_fmac_f64_e32 v[44:45], v[74:75], v[96:97]
	v_mul_f64 v[74:75], v[32:33], v[70:71]
	v_mul_f64 v[74:75], v[72:73], v[74:75]
	s_waitcnt lgkmcnt(1)
	v_fmac_f64_e32 v[44:45], v[74:75], v[98:99]
	v_mul_f64 v[74:75], v[26:27], v[70:71]
	v_mul_f64 v[74:75], v[68:69], v[74:75]
	s_waitcnt lgkmcnt(0)
	v_fmac_f64_e32 v[44:45], v[74:75], v[78:79]
	ds_read_b64 v[74:75], v254 offset:72
	ds_read_b64 v[78:79], v254 offset:80
	v_mul_f64 v[70:71], v[22:23], v[70:71]
	v_mul_f64 v[70:71], v[64:65], v[70:71]
	;; [unrolled: 1-line block ×3, first 2 shown]
	s_waitcnt lgkmcnt(1)
	v_fmac_f64_e32 v[44:45], v[70:71], v[74:75]
	v_mul_f64 v[70:71], v[8:9], v[62:63]
	v_mul_f64 v[70:71], v[10:11], v[70:71]
	;; [unrolled: 1-line block ×4, first 2 shown]
	s_waitcnt lgkmcnt(0)
	v_fmac_f64_e32 v[44:45], v[74:75], v[78:79]
	ds_read_b64 v[78:79], v254 offset:88
	v_mul_f64 v[74:75], v[36:37], v[70:71]
	v_mul_f64 v[74:75], v[76:77], v[74:75]
	s_waitcnt lgkmcnt(0)
	v_fmac_f64_e32 v[44:45], v[74:75], v[78:79]
	ds_read_b64 v[78:79], v254 offset:96
	v_mul_f64 v[74:75], v[32:33], v[70:71]
	v_mul_f64 v[74:75], v[72:73], v[74:75]
	s_waitcnt lgkmcnt(0)
	v_fmac_f64_e32 v[44:45], v[74:75], v[78:79]
	ds_read_b64 v[78:79], v254 offset:104
	v_mul_f64 v[74:75], v[26:27], v[70:71]
	v_mul_f64 v[74:75], v[68:69], v[74:75]
	v_mul_f64 v[70:71], v[22:23], v[70:71]
	v_mul_f64 v[70:71], v[64:65], v[70:71]
	s_waitcnt lgkmcnt(0)
	v_fmac_f64_e32 v[44:45], v[74:75], v[78:79]
	ds_read_b64 v[74:75], v254 offset:112
	ds_read_b64 v[78:79], v254 offset:120
	s_waitcnt lgkmcnt(1)
	v_fmac_f64_e32 v[44:45], v[70:71], v[74:75]
	v_mul_f64 v[70:71], v[4:5], v[62:63]
	v_mul_f64 v[70:71], v[6:7], v[70:71]
	;; [unrolled: 1-line block ×4, first 2 shown]
	s_waitcnt lgkmcnt(0)
	v_fmac_f64_e32 v[44:45], v[74:75], v[78:79]
	ds_read_b64 v[78:79], v254 offset:128
	v_mul_f64 v[74:75], v[36:37], v[70:71]
	v_mul_f64 v[74:75], v[76:77], v[74:75]
	;; [unrolled: 1-line block ×4, first 2 shown]
	s_waitcnt lgkmcnt(0)
	v_fmac_f64_e32 v[44:45], v[74:75], v[78:79]
	ds_read_b64 v[78:79], v254 offset:136
	v_mul_f64 v[74:75], v[32:33], v[70:71]
	v_mul_f64 v[74:75], v[72:73], v[74:75]
	s_waitcnt lgkmcnt(0)
	v_fmac_f64_e32 v[44:45], v[74:75], v[78:79]
	ds_read_b64 v[78:79], v254 offset:144
	v_mul_f64 v[74:75], v[26:27], v[70:71]
	v_mul_f64 v[74:75], v[68:69], v[74:75]
	;; [unrolled: 1-line block ×4, first 2 shown]
	s_waitcnt lgkmcnt(0)
	v_fmac_f64_e32 v[44:45], v[74:75], v[78:79]
	ds_read_b64 v[74:75], v254 offset:152
	s_waitcnt lgkmcnt(0)
	v_fmac_f64_e32 v[44:45], v[70:71], v[74:75]
	ds_read_b64 v[74:75], v254 offset:160
	v_mul_f64 v[70:71], v[40:41], v[62:63]
	v_mul_f64 v[70:71], v[80:81], v[70:71]
	s_waitcnt lgkmcnt(0)
	v_fmac_f64_e32 v[44:45], v[70:71], v[74:75]
	ds_read_b64 v[74:75], v254 offset:168
	v_mul_f64 v[70:71], v[36:37], v[62:63]
	v_mul_f64 v[70:71], v[76:77], v[70:71]
	;; [unrolled: 5-line block ×4, first 2 shown]
	v_mul_f64 v[62:63], v[22:23], v[62:63]
	v_mul_f64 v[62:63], v[64:65], v[62:63]
	s_waitcnt lgkmcnt(0)
	v_fmac_f64_e32 v[44:45], v[70:71], v[74:75]
	ds_read_b64 v[70:71], v254 offset:192
	s_waitcnt lgkmcnt(0)
	v_fmac_f64_e32 v[44:45], v[62:63], v[70:71]
	ds_read_b64 v[70:71], v254 offset:200
	v_mul_f64 v[62:63], v[28:29], v[56:57]
	v_mul_f64 v[62:63], v[30:31], v[62:63]
	v_mul_f64 v[66:67], v[40:41], v[62:63]
	v_mul_f64 v[66:67], v[80:81], v[66:67]
	s_waitcnt lgkmcnt(0)
	v_fmac_f64_e32 v[44:45], v[70:71], v[66:67]
	ds_read_b64 v[70:71], v254 offset:208
	v_mul_f64 v[66:67], v[36:37], v[62:63]
	v_mul_f64 v[66:67], v[76:77], v[66:67]
	s_waitcnt lgkmcnt(0)
	v_fmac_f64_e32 v[44:45], v[70:71], v[66:67]
	ds_read_b64 v[70:71], v254 offset:216
	v_mul_f64 v[66:67], v[32:33], v[62:63]
	v_mul_f64 v[66:67], v[72:73], v[66:67]
	s_waitcnt lgkmcnt(0)
	v_fmac_f64_e32 v[44:45], v[70:71], v[66:67]
	ds_read_b64 v[70:71], v254 offset:224
	v_mul_f64 v[66:67], v[26:27], v[62:63]
	v_mul_f64 v[66:67], v[68:69], v[66:67]
	v_mul_f64 v[62:63], v[22:23], v[62:63]
	v_mul_f64 v[62:63], v[64:65], v[62:63]
	s_waitcnt lgkmcnt(0)
	v_fmac_f64_e32 v[44:45], v[70:71], v[66:67]
	ds_read_b64 v[66:67], v254 offset:232
	ds_read_b64 v[70:71], v254 offset:240
	s_waitcnt lgkmcnt(1)
	v_fmac_f64_e32 v[44:45], v[62:63], v[66:67]
	v_mul_f64 v[62:63], v[12:13], v[56:57]
	v_mul_f64 v[62:63], v[14:15], v[62:63]
	v_mul_f64 v[66:67], v[40:41], v[62:63]
	v_mul_f64 v[66:67], v[80:81], v[66:67]
	s_waitcnt lgkmcnt(0)
	v_fmac_f64_e32 v[44:45], v[66:67], v[70:71]
	ds_read_b64 v[70:71], v254 offset:248
	v_mul_f64 v[66:67], v[36:37], v[62:63]
	v_mul_f64 v[66:67], v[76:77], v[66:67]
	s_waitcnt lgkmcnt(0)
	v_fmac_f64_e32 v[44:45], v[66:67], v[70:71]
	ds_read_b64 v[70:71], v254 offset:256
	v_mul_f64 v[66:67], v[32:33], v[62:63]
	v_mul_f64 v[66:67], v[72:73], v[66:67]
	s_waitcnt lgkmcnt(0)
	v_fmac_f64_e32 v[44:45], v[66:67], v[70:71]
	ds_read_b64 v[70:71], v254 offset:264
	v_mul_f64 v[66:67], v[26:27], v[62:63]
	v_mul_f64 v[66:67], v[68:69], v[66:67]
	v_mul_f64 v[62:63], v[22:23], v[62:63]
	v_mul_f64 v[62:63], v[64:65], v[62:63]
	s_waitcnt lgkmcnt(0)
	v_fmac_f64_e32 v[44:45], v[66:67], v[70:71]
	ds_read_b64 v[66:67], v254 offset:272
	ds_read_b64 v[70:71], v254 offset:280
	s_waitcnt lgkmcnt(1)
	v_fmac_f64_e32 v[44:45], v[62:63], v[66:67]
	;; [unrolled: 27-line block ×3, first 2 shown]
	v_mul_f64 v[62:63], v[4:5], v[56:57]
	v_mul_f64 v[62:63], v[6:7], v[62:63]
	;; [unrolled: 1-line block ×4, first 2 shown]
	s_waitcnt lgkmcnt(0)
	v_fmac_f64_e32 v[44:45], v[66:67], v[70:71]
	ds_read_b64 v[70:71], v254 offset:328
	v_mul_f64 v[66:67], v[36:37], v[62:63]
	v_mul_f64 v[66:67], v[76:77], v[66:67]
	v_mul_f64 v[56:57], v[48:49], v[56:57]
	v_mul_f64 v[56:57], v[52:53], v[56:57]
	s_waitcnt lgkmcnt(0)
	v_fmac_f64_e32 v[44:45], v[66:67], v[70:71]
	ds_read_b64 v[70:71], v254 offset:336
	v_mul_f64 v[66:67], v[32:33], v[62:63]
	v_mul_f64 v[66:67], v[72:73], v[66:67]
	s_waitcnt lgkmcnt(0)
	v_fmac_f64_e32 v[44:45], v[66:67], v[70:71]
	ds_read_b64 v[70:71], v254 offset:344
	v_mul_f64 v[66:67], v[26:27], v[62:63]
	v_mul_f64 v[66:67], v[68:69], v[66:67]
	;; [unrolled: 1-line block ×4, first 2 shown]
	s_waitcnt lgkmcnt(0)
	v_fmac_f64_e32 v[44:45], v[66:67], v[70:71]
	ds_read_b64 v[66:67], v254 offset:352
	s_waitcnt lgkmcnt(0)
	v_fmac_f64_e32 v[44:45], v[62:63], v[66:67]
	ds_read_b64 v[66:67], v254 offset:360
	v_mul_f64 v[62:63], v[40:41], v[56:57]
	v_mul_f64 v[62:63], v[80:81], v[62:63]
	s_waitcnt lgkmcnt(0)
	v_fmac_f64_e32 v[44:45], v[62:63], v[66:67]
	ds_read_b64 v[66:67], v254 offset:368
	v_mul_f64 v[62:63], v[36:37], v[56:57]
	v_mul_f64 v[62:63], v[76:77], v[62:63]
	;; [unrolled: 5-line block ×4, first 2 shown]
	v_mul_f64 v[56:57], v[22:23], v[56:57]
	v_mul_f64 v[56:57], v[64:65], v[56:57]
	s_waitcnt lgkmcnt(0)
	v_fmac_f64_e32 v[44:45], v[62:63], v[66:67]
	ds_read_b64 v[62:63], v254 offset:392
	s_waitcnt lgkmcnt(0)
	v_fmac_f64_e32 v[44:45], v[56:57], v[62:63]
	ds_read_b64 v[56:57], v126 offset:64
	ds_read_b64 v[62:63], v255 offset:64
	;; [unrolled: 1-line block ×3, first 2 shown]
	s_waitcnt lgkmcnt(1)
	v_mul_f64 v[56:57], v[56:57], v[62:63]
	v_mul_f64 v[62:63], v[28:29], v[56:57]
	;; [unrolled: 1-line block ×5, first 2 shown]
	s_waitcnt lgkmcnt(0)
	v_fmac_f64_e32 v[44:45], v[70:71], v[66:67]
	ds_read_b64 v[70:71], v254 offset:408
	v_mul_f64 v[66:67], v[36:37], v[62:63]
	v_mul_f64 v[66:67], v[76:77], v[66:67]
	s_waitcnt lgkmcnt(0)
	v_fmac_f64_e32 v[44:45], v[70:71], v[66:67]
	ds_read_b64 v[70:71], v254 offset:416
	v_mul_f64 v[66:67], v[32:33], v[62:63]
	v_mul_f64 v[66:67], v[72:73], v[66:67]
	s_waitcnt lgkmcnt(0)
	v_fmac_f64_e32 v[44:45], v[70:71], v[66:67]
	ds_read_b64 v[70:71], v254 offset:424
	v_mul_f64 v[66:67], v[26:27], v[62:63]
	v_mul_f64 v[66:67], v[68:69], v[66:67]
	v_mul_f64 v[62:63], v[22:23], v[62:63]
	v_mul_f64 v[62:63], v[64:65], v[62:63]
	s_waitcnt lgkmcnt(0)
	v_fmac_f64_e32 v[44:45], v[70:71], v[66:67]
	ds_read_b64 v[66:67], v254 offset:432
	ds_read_b64 v[70:71], v254 offset:440
	s_waitcnt lgkmcnt(1)
	v_fmac_f64_e32 v[44:45], v[62:63], v[66:67]
	v_mul_f64 v[62:63], v[12:13], v[56:57]
	v_mul_f64 v[62:63], v[14:15], v[62:63]
	v_mul_f64 v[66:67], v[40:41], v[62:63]
	v_mul_f64 v[66:67], v[80:81], v[66:67]
	s_waitcnt lgkmcnt(0)
	v_fmac_f64_e32 v[44:45], v[66:67], v[70:71]
	ds_read_b64 v[70:71], v254 offset:448
	v_mul_f64 v[66:67], v[36:37], v[62:63]
	v_mul_f64 v[66:67], v[76:77], v[66:67]
	s_waitcnt lgkmcnt(0)
	v_fmac_f64_e32 v[44:45], v[66:67], v[70:71]
	ds_read_b64 v[70:71], v254 offset:456
	v_mul_f64 v[66:67], v[32:33], v[62:63]
	v_mul_f64 v[66:67], v[72:73], v[66:67]
	s_waitcnt lgkmcnt(0)
	v_fmac_f64_e32 v[44:45], v[66:67], v[70:71]
	ds_read_b64 v[70:71], v254 offset:464
	v_mul_f64 v[66:67], v[26:27], v[62:63]
	v_mul_f64 v[66:67], v[68:69], v[66:67]
	v_mul_f64 v[62:63], v[22:23], v[62:63]
	v_mul_f64 v[62:63], v[64:65], v[62:63]
	s_waitcnt lgkmcnt(0)
	v_fmac_f64_e32 v[44:45], v[66:67], v[70:71]
	ds_read_b64 v[66:67], v254 offset:472
	ds_read_b64 v[70:71], v254 offset:480
	s_waitcnt lgkmcnt(1)
	v_fmac_f64_e32 v[44:45], v[62:63], v[66:67]
	v_mul_f64 v[62:63], v[8:9], v[56:57]
	v_mul_f64 v[62:63], v[10:11], v[62:63]
	v_mul_f64 v[66:67], v[40:41], v[62:63]
	v_mul_f64 v[66:67], v[80:81], v[66:67]
	;; [unrolled: 27-line block ×3, first 2 shown]
	s_waitcnt lgkmcnt(0)
	v_fmac_f64_e32 v[44:45], v[66:67], v[70:71]
	ds_read_b64 v[70:71], v254 offset:528
	v_mul_f64 v[66:67], v[36:37], v[62:63]
	v_mul_f64 v[66:67], v[76:77], v[66:67]
	;; [unrolled: 1-line block ×4, first 2 shown]
	s_waitcnt lgkmcnt(0)
	v_fmac_f64_e32 v[44:45], v[66:67], v[70:71]
	ds_read_b64 v[70:71], v254 offset:536
	v_mul_f64 v[66:67], v[32:33], v[62:63]
	v_mul_f64 v[66:67], v[72:73], v[66:67]
	s_waitcnt lgkmcnt(0)
	v_fmac_f64_e32 v[44:45], v[66:67], v[70:71]
	ds_read_b64 v[70:71], v254 offset:544
	v_mul_f64 v[66:67], v[26:27], v[62:63]
	v_mul_f64 v[66:67], v[68:69], v[66:67]
	;; [unrolled: 1-line block ×4, first 2 shown]
	s_waitcnt lgkmcnt(0)
	v_fmac_f64_e32 v[44:45], v[66:67], v[70:71]
	ds_read_b64 v[66:67], v254 offset:552
	s_waitcnt lgkmcnt(0)
	v_fmac_f64_e32 v[44:45], v[62:63], v[66:67]
	ds_read_b64 v[66:67], v254 offset:560
	v_mul_f64 v[62:63], v[40:41], v[56:57]
	v_mul_f64 v[62:63], v[80:81], v[62:63]
	s_waitcnt lgkmcnt(0)
	v_fmac_f64_e32 v[44:45], v[62:63], v[66:67]
	ds_read_b64 v[66:67], v254 offset:568
	v_mul_f64 v[62:63], v[36:37], v[56:57]
	v_mul_f64 v[62:63], v[76:77], v[62:63]
	;; [unrolled: 5-line block ×4, first 2 shown]
	v_mul_f64 v[56:57], v[22:23], v[56:57]
	v_mul_f64 v[56:57], v[64:65], v[56:57]
	s_waitcnt lgkmcnt(0)
	v_fmac_f64_e32 v[44:45], v[62:63], v[66:67]
	ds_read_b64 v[62:63], v254 offset:592
	s_waitcnt lgkmcnt(0)
	v_fmac_f64_e32 v[44:45], v[56:57], v[62:63]
	ds_read_b64 v[56:57], v126 offset:96
	ds_read_b64 v[62:63], v255 offset:96
	;; [unrolled: 1-line block ×3, first 2 shown]
	s_waitcnt lgkmcnt(1)
	v_mul_f64 v[56:57], v[56:57], v[62:63]
	v_mul_f64 v[62:63], v[28:29], v[56:57]
	;; [unrolled: 1-line block ×5, first 2 shown]
	s_waitcnt lgkmcnt(0)
	v_fmac_f64_e32 v[44:45], v[70:71], v[66:67]
	ds_read_b64 v[70:71], v254 offset:608
	v_mul_f64 v[66:67], v[36:37], v[62:63]
	v_mul_f64 v[66:67], v[76:77], v[66:67]
	s_waitcnt lgkmcnt(0)
	v_fmac_f64_e32 v[44:45], v[70:71], v[66:67]
	ds_read_b64 v[70:71], v254 offset:616
	v_mul_f64 v[66:67], v[32:33], v[62:63]
	v_mul_f64 v[66:67], v[72:73], v[66:67]
	s_waitcnt lgkmcnt(0)
	v_fmac_f64_e32 v[44:45], v[70:71], v[66:67]
	ds_read_b64 v[70:71], v254 offset:624
	v_mul_f64 v[66:67], v[26:27], v[62:63]
	v_mul_f64 v[66:67], v[68:69], v[66:67]
	v_mul_f64 v[62:63], v[22:23], v[62:63]
	v_mul_f64 v[62:63], v[64:65], v[62:63]
	s_waitcnt lgkmcnt(0)
	v_fmac_f64_e32 v[44:45], v[70:71], v[66:67]
	ds_read_b64 v[66:67], v254 offset:632
	ds_read_b64 v[70:71], v254 offset:640
	s_waitcnt lgkmcnt(1)
	v_fmac_f64_e32 v[44:45], v[62:63], v[66:67]
	v_mul_f64 v[62:63], v[12:13], v[56:57]
	v_mul_f64 v[62:63], v[14:15], v[62:63]
	v_mul_f64 v[66:67], v[40:41], v[62:63]
	v_mul_f64 v[66:67], v[80:81], v[66:67]
	s_waitcnt lgkmcnt(0)
	v_fmac_f64_e32 v[44:45], v[66:67], v[70:71]
	ds_read_b64 v[70:71], v254 offset:648
	v_mul_f64 v[66:67], v[36:37], v[62:63]
	v_mul_f64 v[66:67], v[76:77], v[66:67]
	s_waitcnt lgkmcnt(0)
	v_fmac_f64_e32 v[44:45], v[66:67], v[70:71]
	ds_read_b64 v[70:71], v254 offset:656
	v_mul_f64 v[66:67], v[32:33], v[62:63]
	v_mul_f64 v[66:67], v[72:73], v[66:67]
	s_waitcnt lgkmcnt(0)
	v_fmac_f64_e32 v[44:45], v[66:67], v[70:71]
	ds_read_b64 v[70:71], v254 offset:664
	v_mul_f64 v[66:67], v[26:27], v[62:63]
	v_mul_f64 v[66:67], v[68:69], v[66:67]
	v_mul_f64 v[62:63], v[22:23], v[62:63]
	v_mul_f64 v[62:63], v[64:65], v[62:63]
	s_waitcnt lgkmcnt(0)
	v_fmac_f64_e32 v[44:45], v[66:67], v[70:71]
	ds_read_b64 v[66:67], v254 offset:672
	ds_read_b64 v[70:71], v254 offset:680
	s_waitcnt lgkmcnt(1)
	v_fmac_f64_e32 v[44:45], v[62:63], v[66:67]
	v_mul_f64 v[62:63], v[8:9], v[56:57]
	v_mul_f64 v[62:63], v[10:11], v[62:63]
	v_mul_f64 v[66:67], v[40:41], v[62:63]
	v_mul_f64 v[66:67], v[80:81], v[66:67]
	;; [unrolled: 27-line block ×3, first 2 shown]
	s_waitcnt lgkmcnt(0)
	v_fmac_f64_e32 v[44:45], v[66:67], v[70:71]
	ds_read_b64 v[70:71], v254 offset:728
	v_mul_f64 v[66:67], v[36:37], v[62:63]
	v_mul_f64 v[66:67], v[76:77], v[66:67]
	;; [unrolled: 1-line block ×4, first 2 shown]
	s_waitcnt lgkmcnt(0)
	v_fmac_f64_e32 v[44:45], v[66:67], v[70:71]
	ds_read_b64 v[70:71], v254 offset:736
	v_mul_f64 v[66:67], v[32:33], v[62:63]
	v_mul_f64 v[66:67], v[72:73], v[66:67]
	s_waitcnt lgkmcnt(0)
	v_fmac_f64_e32 v[44:45], v[66:67], v[70:71]
	ds_read_b64 v[70:71], v254 offset:744
	v_mul_f64 v[66:67], v[26:27], v[62:63]
	v_mul_f64 v[66:67], v[68:69], v[66:67]
	;; [unrolled: 1-line block ×4, first 2 shown]
	s_waitcnt lgkmcnt(0)
	v_fmac_f64_e32 v[44:45], v[66:67], v[70:71]
	ds_read_b64 v[66:67], v254 offset:752
	s_waitcnt lgkmcnt(0)
	v_fmac_f64_e32 v[44:45], v[62:63], v[66:67]
	ds_read_b64 v[66:67], v254 offset:760
	v_mul_f64 v[62:63], v[40:41], v[56:57]
	v_mul_f64 v[62:63], v[80:81], v[62:63]
	s_waitcnt lgkmcnt(0)
	v_fmac_f64_e32 v[44:45], v[62:63], v[66:67]
	ds_read_b64 v[66:67], v254 offset:768
	v_mul_f64 v[62:63], v[36:37], v[56:57]
	v_mul_f64 v[62:63], v[76:77], v[62:63]
	;; [unrolled: 5-line block ×4, first 2 shown]
	v_mul_f64 v[56:57], v[22:23], v[56:57]
	v_mul_f64 v[56:57], v[64:65], v[56:57]
	s_waitcnt lgkmcnt(0)
	v_fmac_f64_e32 v[44:45], v[62:63], v[66:67]
	ds_read_b64 v[62:63], v254 offset:792
	s_waitcnt lgkmcnt(0)
	v_fmac_f64_e32 v[44:45], v[56:57], v[62:63]
	ds_read_b64 v[56:57], v126 offset:128
	ds_read_b64 v[62:63], v255 offset:128
	s_waitcnt lgkmcnt(0)
	v_mul_f64 v[56:57], v[56:57], v[62:63]
	ds_read_b64 v[62:63], v254 offset:800
	v_mul_f64 v[28:29], v[28:29], v[56:57]
	v_mul_f64 v[28:29], v[30:31], v[28:29]
	v_mul_f64 v[30:31], v[40:41], v[28:29]
	v_mul_f64 v[30:31], v[80:81], v[30:31]
	s_waitcnt lgkmcnt(0)
	v_fmac_f64_e32 v[44:45], v[62:63], v[30:31]
	ds_read_b64 v[62:63], v254 offset:808
	v_mul_f64 v[30:31], v[36:37], v[28:29]
	v_mul_f64 v[30:31], v[76:77], v[30:31]
	v_mul_f64 v[12:13], v[12:13], v[56:57]
	v_mul_f64 v[12:13], v[14:15], v[12:13]
	s_waitcnt lgkmcnt(0)
	v_fmac_f64_e32 v[44:45], v[62:63], v[30:31]
	;; [unrolled: 7-line block ×6, first 2 shown]
	ds_read_b64 v[28:29], v254 offset:848
	v_mul_f64 v[14:15], v[36:37], v[12:13]
	v_mul_f64 v[14:15], v[76:77], v[14:15]
	s_waitcnt lgkmcnt(0)
	v_fmac_f64_e32 v[44:45], v[14:15], v[28:29]
	ds_read_b64 v[28:29], v254 offset:856
	v_mul_f64 v[14:15], v[32:33], v[12:13]
	v_mul_f64 v[14:15], v[72:73], v[14:15]
	s_waitcnt lgkmcnt(0)
	v_fmac_f64_e32 v[44:45], v[14:15], v[28:29]
	ds_read_b64 v[28:29], v254 offset:864
	v_mul_f64 v[14:15], v[26:27], v[12:13]
	v_mul_f64 v[14:15], v[68:69], v[14:15]
	;; [unrolled: 1-line block ×4, first 2 shown]
	s_waitcnt lgkmcnt(0)
	v_fmac_f64_e32 v[44:45], v[14:15], v[28:29]
	ds_read_b64 v[14:15], v254 offset:872
	s_waitcnt lgkmcnt(0)
	v_fmac_f64_e32 v[44:45], v[12:13], v[14:15]
	ds_read_b64 v[12:13], v254 offset:880
	s_waitcnt lgkmcnt(0)
	v_fmac_f64_e32 v[44:45], v[10:11], v[12:13]
	ds_read_b64 v[12:13], v254 offset:888
	v_mul_f64 v[10:11], v[36:37], v[8:9]
	v_mul_f64 v[10:11], v[76:77], v[10:11]
	s_waitcnt lgkmcnt(0)
	v_fmac_f64_e32 v[44:45], v[10:11], v[12:13]
	ds_read_b64 v[12:13], v254 offset:896
	v_mul_f64 v[10:11], v[32:33], v[8:9]
	v_mul_f64 v[10:11], v[72:73], v[10:11]
	s_waitcnt lgkmcnt(0)
	v_fmac_f64_e32 v[44:45], v[10:11], v[12:13]
	ds_read_b64 v[12:13], v254 offset:904
	v_mul_f64 v[10:11], v[26:27], v[8:9]
	v_mul_f64 v[10:11], v[68:69], v[10:11]
	;; [unrolled: 1-line block ×4, first 2 shown]
	s_waitcnt lgkmcnt(0)
	v_fmac_f64_e32 v[44:45], v[10:11], v[12:13]
	ds_read_b64 v[10:11], v254 offset:912
	s_waitcnt lgkmcnt(0)
	v_fmac_f64_e32 v[44:45], v[8:9], v[10:11]
	ds_read_b64 v[8:9], v254 offset:920
	;; [unrolled: 3-line block ×3, first 2 shown]
	v_mul_f64 v[6:7], v[36:37], v[4:5]
	v_mul_f64 v[6:7], v[76:77], v[6:7]
	s_waitcnt lgkmcnt(0)
	v_fmac_f64_e32 v[44:45], v[6:7], v[8:9]
	ds_read_b64 v[8:9], v254 offset:936
	v_mul_f64 v[6:7], v[32:33], v[4:5]
	v_mul_f64 v[6:7], v[72:73], v[6:7]
	s_waitcnt lgkmcnt(0)
	v_fmac_f64_e32 v[44:45], v[6:7], v[8:9]
	ds_read_b64 v[8:9], v254 offset:944
	v_mul_f64 v[6:7], v[26:27], v[4:5]
	v_mul_f64 v[6:7], v[68:69], v[6:7]
	;; [unrolled: 1-line block ×4, first 2 shown]
	s_waitcnt lgkmcnt(0)
	v_fmac_f64_e32 v[44:45], v[6:7], v[8:9]
	ds_read_b64 v[6:7], v254 offset:952
	ds_read_b64 v[8:9], v254 offset:960
	s_waitcnt lgkmcnt(1)
	v_fmac_f64_e32 v[44:45], v[4:5], v[6:7]
	v_mul_f64 v[4:5], v[48:49], v[56:57]
	v_mul_f64 v[4:5], v[52:53], v[4:5]
	;; [unrolled: 1-line block ×4, first 2 shown]
	s_waitcnt lgkmcnt(0)
	v_fmac_f64_e32 v[44:45], v[6:7], v[8:9]
	ds_read_b64 v[8:9], v254 offset:968
	v_mul_f64 v[6:7], v[36:37], v[4:5]
	v_mul_f64 v[6:7], v[76:77], v[6:7]
	s_waitcnt lgkmcnt(0)
	v_fmac_f64_e32 v[44:45], v[6:7], v[8:9]
	ds_read_b64 v[8:9], v254 offset:976
	v_mul_f64 v[6:7], v[32:33], v[4:5]
	v_mul_f64 v[6:7], v[72:73], v[6:7]
	;; [unrolled: 5-line block ×3, first 2 shown]
	v_mul_f64 v[4:5], v[22:23], v[4:5]
	v_mul_f64 v[4:5], v[64:65], v[4:5]
	s_waitcnt lgkmcnt(0)
	v_fmac_f64_e32 v[44:45], v[6:7], v[8:9]
	ds_read_b64 v[6:7], v254 offset:992
	s_waitcnt lgkmcnt(0)
	v_fmac_f64_e32 v[44:45], v[4:5], v[6:7]
	global_store_dwordx2 v[18:19], v[44:45], off offset:2048
	ds_read_b64 v[36:37], v125
	ds_read_b64 v[32:33], v125 offset:32
	ds_read_b64 v[26:27], v125 offset:64
	;; [unrolled: 1-line block ×5, first 2 shown]
	ds_read_b64 v[30:31], v124
	ds_read_b64 v[12:13], v124 offset:32
	ds_read_b64 v[14:15], v254 offset:1064
	;; [unrolled: 1-line block ×8, first 2 shown]
	ds_read_b64 v[40:41], v126
	ds_read_b64 v[52:53], v126 offset:32
	ds_read_b64 v[56:57], v255
	ds_read_b64 v[62:63], v255 offset:32
	;; [unrolled: 2-line block ×3, first 2 shown]
	ds_read_b64 v[70:71], v254 offset:16
	ds_read_b64 v[72:73], v254 offset:24
	ds_read_b64 v[74:75], v254 offset:32
	ds_read_b64 v[76:77], v254 offset:40
	ds_read_b64 v[78:79], v254 offset:48
	ds_read_b64 v[80:81], v254 offset:56
	s_waitcnt lgkmcnt(9)
	v_mul_f64 v[56:57], v[40:41], v[56:57]
	v_mul_f64 v[40:41], v[30:31], v[56:57]
	;; [unrolled: 1-line block ×5, first 2 shown]
	s_waitcnt lgkmcnt(7)
	v_fma_f64 v[40:41], v[66:67], v[40:41], 0
	v_mul_f64 v[66:67], v[32:33], v[64:65]
	v_mul_f64 v[66:67], v[242:243], v[66:67]
	s_waitcnt lgkmcnt(6)
	v_fmac_f64_e32 v[40:41], v[68:69], v[66:67]
	v_mul_f64 v[66:67], v[26:27], v[64:65]
	v_mul_f64 v[66:67], v[238:239], v[66:67]
	s_waitcnt lgkmcnt(5)
	v_fmac_f64_e32 v[40:41], v[70:71], v[66:67]
	v_mul_f64 v[66:67], v[22:23], v[64:65]
	v_mul_f64 v[66:67], v[246:247], v[66:67]
	;; [unrolled: 1-line block ×3, first 2 shown]
	s_waitcnt lgkmcnt(4)
	v_fmac_f64_e32 v[40:41], v[72:73], v[66:67]
	v_mul_f64 v[64:65], v[118:119], v[64:65]
	s_waitcnt lgkmcnt(3)
	v_fmac_f64_e32 v[40:41], v[64:65], v[74:75]
	v_mul_f64 v[64:65], v[12:13], v[56:57]
	v_mul_f64 v[64:65], v[14:15], v[64:65]
	;; [unrolled: 1-line block ×4, first 2 shown]
	s_waitcnt lgkmcnt(2)
	v_fmac_f64_e32 v[40:41], v[66:67], v[76:77]
	v_mul_f64 v[66:67], v[32:33], v[64:65]
	v_mul_f64 v[66:67], v[242:243], v[66:67]
	ds_read_b64 v[68:69], v254 offset:64
	s_waitcnt lgkmcnt(2)
	v_fmac_f64_e32 v[40:41], v[66:67], v[78:79]
	v_mul_f64 v[66:67], v[26:27], v[64:65]
	v_mul_f64 v[66:67], v[238:239], v[66:67]
	s_waitcnt lgkmcnt(1)
	v_fmac_f64_e32 v[40:41], v[66:67], v[80:81]
	v_mul_f64 v[66:67], v[22:23], v[64:65]
	v_mul_f64 v[66:67], v[246:247], v[66:67]
	s_waitcnt lgkmcnt(0)
	v_fmac_f64_e32 v[40:41], v[66:67], v[68:69]
	ds_read_b64 v[66:67], v254 offset:72
	ds_read_b64 v[68:69], v254 offset:80
	v_mul_f64 v[64:65], v[18:19], v[64:65]
	v_mul_f64 v[64:65], v[118:119], v[64:65]
	;; [unrolled: 1-line block ×3, first 2 shown]
	s_waitcnt lgkmcnt(1)
	v_fmac_f64_e32 v[40:41], v[64:65], v[66:67]
	v_mul_f64 v[64:65], v[8:9], v[56:57]
	v_mul_f64 v[64:65], v[10:11], v[64:65]
	;; [unrolled: 1-line block ×4, first 2 shown]
	s_waitcnt lgkmcnt(0)
	v_fmac_f64_e32 v[40:41], v[66:67], v[68:69]
	ds_read_b64 v[68:69], v254 offset:88
	v_mul_f64 v[66:67], v[32:33], v[64:65]
	v_mul_f64 v[66:67], v[242:243], v[66:67]
	s_waitcnt lgkmcnt(0)
	v_fmac_f64_e32 v[40:41], v[66:67], v[68:69]
	ds_read_b64 v[68:69], v254 offset:96
	v_mul_f64 v[66:67], v[26:27], v[64:65]
	v_mul_f64 v[66:67], v[238:239], v[66:67]
	;; [unrolled: 5-line block ×3, first 2 shown]
	v_mul_f64 v[64:65], v[18:19], v[64:65]
	v_mul_f64 v[64:65], v[118:119], v[64:65]
	s_waitcnt lgkmcnt(0)
	v_fmac_f64_e32 v[40:41], v[66:67], v[68:69]
	ds_read_b64 v[66:67], v254 offset:112
	ds_read_b64 v[68:69], v254 offset:120
	s_waitcnt lgkmcnt(1)
	v_fmac_f64_e32 v[40:41], v[64:65], v[66:67]
	v_mul_f64 v[64:65], v[4:5], v[56:57]
	v_mul_f64 v[64:65], v[6:7], v[64:65]
	;; [unrolled: 1-line block ×4, first 2 shown]
	s_waitcnt lgkmcnt(0)
	v_fmac_f64_e32 v[40:41], v[66:67], v[68:69]
	ds_read_b64 v[68:69], v254 offset:128
	v_mul_f64 v[66:67], v[32:33], v[64:65]
	v_mul_f64 v[66:67], v[242:243], v[66:67]
	;; [unrolled: 1-line block ×4, first 2 shown]
	s_waitcnt lgkmcnt(0)
	v_fmac_f64_e32 v[40:41], v[66:67], v[68:69]
	ds_read_b64 v[68:69], v254 offset:136
	v_mul_f64 v[66:67], v[26:27], v[64:65]
	v_mul_f64 v[66:67], v[238:239], v[66:67]
	s_waitcnt lgkmcnt(0)
	v_fmac_f64_e32 v[40:41], v[66:67], v[68:69]
	ds_read_b64 v[68:69], v254 offset:144
	v_mul_f64 v[66:67], v[22:23], v[64:65]
	v_mul_f64 v[66:67], v[246:247], v[66:67]
	;; [unrolled: 1-line block ×4, first 2 shown]
	s_waitcnt lgkmcnt(0)
	v_fmac_f64_e32 v[40:41], v[66:67], v[68:69]
	ds_read_b64 v[66:67], v254 offset:152
	s_waitcnt lgkmcnt(0)
	v_fmac_f64_e32 v[40:41], v[64:65], v[66:67]
	ds_read_b64 v[66:67], v254 offset:160
	v_mul_f64 v[64:65], v[36:37], v[56:57]
	v_mul_f64 v[64:65], v[228:229], v[64:65]
	s_waitcnt lgkmcnt(0)
	v_fmac_f64_e32 v[40:41], v[64:65], v[66:67]
	ds_read_b64 v[66:67], v254 offset:168
	v_mul_f64 v[64:65], v[32:33], v[56:57]
	v_mul_f64 v[64:65], v[242:243], v[64:65]
	;; [unrolled: 5-line block ×4, first 2 shown]
	v_mul_f64 v[56:57], v[18:19], v[56:57]
	v_mul_f64 v[56:57], v[118:119], v[56:57]
	s_waitcnt lgkmcnt(0)
	v_fmac_f64_e32 v[40:41], v[64:65], v[66:67]
	ds_read_b64 v[64:65], v254 offset:192
	s_waitcnt lgkmcnt(0)
	v_fmac_f64_e32 v[40:41], v[56:57], v[64:65]
	ds_read_b64 v[64:65], v254 offset:200
	v_mul_f64 v[56:57], v[30:31], v[52:53]
	v_mul_f64 v[56:57], v[28:29], v[56:57]
	v_mul_f64 v[62:63], v[36:37], v[56:57]
	v_mul_f64 v[62:63], v[228:229], v[62:63]
	s_waitcnt lgkmcnt(0)
	v_fmac_f64_e32 v[40:41], v[64:65], v[62:63]
	ds_read_b64 v[64:65], v254 offset:208
	v_mul_f64 v[62:63], v[32:33], v[56:57]
	v_mul_f64 v[62:63], v[242:243], v[62:63]
	s_waitcnt lgkmcnt(0)
	v_fmac_f64_e32 v[40:41], v[64:65], v[62:63]
	ds_read_b64 v[64:65], v254 offset:216
	v_mul_f64 v[62:63], v[26:27], v[56:57]
	v_mul_f64 v[62:63], v[238:239], v[62:63]
	s_waitcnt lgkmcnt(0)
	v_fmac_f64_e32 v[40:41], v[64:65], v[62:63]
	ds_read_b64 v[64:65], v254 offset:224
	v_mul_f64 v[62:63], v[22:23], v[56:57]
	v_mul_f64 v[62:63], v[246:247], v[62:63]
	v_mul_f64 v[56:57], v[18:19], v[56:57]
	v_mul_f64 v[56:57], v[118:119], v[56:57]
	s_waitcnt lgkmcnt(0)
	v_fmac_f64_e32 v[40:41], v[64:65], v[62:63]
	ds_read_b64 v[62:63], v254 offset:232
	ds_read_b64 v[64:65], v254 offset:240
	s_waitcnt lgkmcnt(1)
	v_fmac_f64_e32 v[40:41], v[56:57], v[62:63]
	v_mul_f64 v[56:57], v[12:13], v[52:53]
	v_mul_f64 v[56:57], v[14:15], v[56:57]
	v_mul_f64 v[62:63], v[36:37], v[56:57]
	v_mul_f64 v[62:63], v[228:229], v[62:63]
	s_waitcnt lgkmcnt(0)
	v_fmac_f64_e32 v[40:41], v[62:63], v[64:65]
	ds_read_b64 v[64:65], v254 offset:248
	v_mul_f64 v[62:63], v[32:33], v[56:57]
	v_mul_f64 v[62:63], v[242:243], v[62:63]
	s_waitcnt lgkmcnt(0)
	v_fmac_f64_e32 v[40:41], v[62:63], v[64:65]
	ds_read_b64 v[64:65], v254 offset:256
	v_mul_f64 v[62:63], v[26:27], v[56:57]
	v_mul_f64 v[62:63], v[238:239], v[62:63]
	s_waitcnt lgkmcnt(0)
	v_fmac_f64_e32 v[40:41], v[62:63], v[64:65]
	ds_read_b64 v[64:65], v254 offset:264
	v_mul_f64 v[62:63], v[22:23], v[56:57]
	v_mul_f64 v[62:63], v[246:247], v[62:63]
	v_mul_f64 v[56:57], v[18:19], v[56:57]
	v_mul_f64 v[56:57], v[118:119], v[56:57]
	s_waitcnt lgkmcnt(0)
	v_fmac_f64_e32 v[40:41], v[62:63], v[64:65]
	ds_read_b64 v[62:63], v254 offset:272
	ds_read_b64 v[64:65], v254 offset:280
	s_waitcnt lgkmcnt(1)
	v_fmac_f64_e32 v[40:41], v[56:57], v[62:63]
	;; [unrolled: 27-line block ×3, first 2 shown]
	v_mul_f64 v[56:57], v[4:5], v[52:53]
	v_mul_f64 v[56:57], v[6:7], v[56:57]
	;; [unrolled: 1-line block ×4, first 2 shown]
	s_waitcnt lgkmcnt(0)
	v_fmac_f64_e32 v[40:41], v[62:63], v[64:65]
	ds_read_b64 v[64:65], v254 offset:328
	v_mul_f64 v[62:63], v[32:33], v[56:57]
	v_mul_f64 v[62:63], v[242:243], v[62:63]
	;; [unrolled: 1-line block ×4, first 2 shown]
	s_waitcnt lgkmcnt(0)
	v_fmac_f64_e32 v[40:41], v[62:63], v[64:65]
	ds_read_b64 v[64:65], v254 offset:336
	v_mul_f64 v[62:63], v[26:27], v[56:57]
	v_mul_f64 v[62:63], v[238:239], v[62:63]
	s_waitcnt lgkmcnt(0)
	v_fmac_f64_e32 v[40:41], v[62:63], v[64:65]
	ds_read_b64 v[64:65], v254 offset:344
	v_mul_f64 v[62:63], v[22:23], v[56:57]
	v_mul_f64 v[62:63], v[246:247], v[62:63]
	;; [unrolled: 1-line block ×4, first 2 shown]
	s_waitcnt lgkmcnt(0)
	v_fmac_f64_e32 v[40:41], v[62:63], v[64:65]
	ds_read_b64 v[62:63], v254 offset:352
	s_waitcnt lgkmcnt(0)
	v_fmac_f64_e32 v[40:41], v[56:57], v[62:63]
	ds_read_b64 v[62:63], v254 offset:360
	v_mul_f64 v[56:57], v[36:37], v[52:53]
	v_mul_f64 v[56:57], v[228:229], v[56:57]
	s_waitcnt lgkmcnt(0)
	v_fmac_f64_e32 v[40:41], v[56:57], v[62:63]
	ds_read_b64 v[62:63], v254 offset:368
	v_mul_f64 v[56:57], v[32:33], v[52:53]
	v_mul_f64 v[56:57], v[242:243], v[56:57]
	;; [unrolled: 5-line block ×4, first 2 shown]
	v_mul_f64 v[52:53], v[18:19], v[52:53]
	v_mul_f64 v[52:53], v[118:119], v[52:53]
	s_waitcnt lgkmcnt(0)
	v_fmac_f64_e32 v[40:41], v[56:57], v[62:63]
	ds_read_b64 v[56:57], v254 offset:392
	s_waitcnt lgkmcnt(0)
	v_fmac_f64_e32 v[40:41], v[52:53], v[56:57]
	ds_read_b64 v[52:53], v126 offset:64
	ds_read_b64 v[56:57], v255 offset:64
	;; [unrolled: 1-line block ×3, first 2 shown]
	s_waitcnt lgkmcnt(1)
	v_mul_f64 v[52:53], v[52:53], v[56:57]
	v_mul_f64 v[56:57], v[30:31], v[52:53]
	;; [unrolled: 1-line block ×5, first 2 shown]
	s_waitcnt lgkmcnt(0)
	v_fmac_f64_e32 v[40:41], v[64:65], v[62:63]
	ds_read_b64 v[64:65], v254 offset:408
	v_mul_f64 v[62:63], v[32:33], v[56:57]
	v_mul_f64 v[62:63], v[242:243], v[62:63]
	s_waitcnt lgkmcnt(0)
	v_fmac_f64_e32 v[40:41], v[64:65], v[62:63]
	ds_read_b64 v[64:65], v254 offset:416
	v_mul_f64 v[62:63], v[26:27], v[56:57]
	v_mul_f64 v[62:63], v[238:239], v[62:63]
	s_waitcnt lgkmcnt(0)
	v_fmac_f64_e32 v[40:41], v[64:65], v[62:63]
	ds_read_b64 v[64:65], v254 offset:424
	v_mul_f64 v[62:63], v[22:23], v[56:57]
	v_mul_f64 v[62:63], v[246:247], v[62:63]
	v_mul_f64 v[56:57], v[18:19], v[56:57]
	v_mul_f64 v[56:57], v[118:119], v[56:57]
	s_waitcnt lgkmcnt(0)
	v_fmac_f64_e32 v[40:41], v[64:65], v[62:63]
	ds_read_b64 v[62:63], v254 offset:432
	ds_read_b64 v[64:65], v254 offset:440
	s_waitcnt lgkmcnt(1)
	v_fmac_f64_e32 v[40:41], v[56:57], v[62:63]
	v_mul_f64 v[56:57], v[12:13], v[52:53]
	v_mul_f64 v[56:57], v[14:15], v[56:57]
	v_mul_f64 v[62:63], v[36:37], v[56:57]
	v_mul_f64 v[62:63], v[228:229], v[62:63]
	s_waitcnt lgkmcnt(0)
	v_fmac_f64_e32 v[40:41], v[62:63], v[64:65]
	ds_read_b64 v[64:65], v254 offset:448
	v_mul_f64 v[62:63], v[32:33], v[56:57]
	v_mul_f64 v[62:63], v[242:243], v[62:63]
	s_waitcnt lgkmcnt(0)
	v_fmac_f64_e32 v[40:41], v[62:63], v[64:65]
	ds_read_b64 v[64:65], v254 offset:456
	v_mul_f64 v[62:63], v[26:27], v[56:57]
	v_mul_f64 v[62:63], v[238:239], v[62:63]
	s_waitcnt lgkmcnt(0)
	v_fmac_f64_e32 v[40:41], v[62:63], v[64:65]
	ds_read_b64 v[64:65], v254 offset:464
	v_mul_f64 v[62:63], v[22:23], v[56:57]
	v_mul_f64 v[62:63], v[246:247], v[62:63]
	v_mul_f64 v[56:57], v[18:19], v[56:57]
	v_mul_f64 v[56:57], v[118:119], v[56:57]
	s_waitcnt lgkmcnt(0)
	v_fmac_f64_e32 v[40:41], v[62:63], v[64:65]
	ds_read_b64 v[62:63], v254 offset:472
	ds_read_b64 v[64:65], v254 offset:480
	s_waitcnt lgkmcnt(1)
	v_fmac_f64_e32 v[40:41], v[56:57], v[62:63]
	v_mul_f64 v[56:57], v[8:9], v[52:53]
	v_mul_f64 v[56:57], v[10:11], v[56:57]
	v_mul_f64 v[62:63], v[36:37], v[56:57]
	v_mul_f64 v[62:63], v[228:229], v[62:63]
	;; [unrolled: 27-line block ×3, first 2 shown]
	s_waitcnt lgkmcnt(0)
	v_fmac_f64_e32 v[40:41], v[62:63], v[64:65]
	ds_read_b64 v[64:65], v254 offset:528
	v_mul_f64 v[62:63], v[32:33], v[56:57]
	v_mul_f64 v[62:63], v[242:243], v[62:63]
	v_mul_f64 v[52:53], v[44:45], v[52:53]
	v_mul_f64 v[52:53], v[48:49], v[52:53]
	s_waitcnt lgkmcnt(0)
	v_fmac_f64_e32 v[40:41], v[62:63], v[64:65]
	ds_read_b64 v[64:65], v254 offset:536
	v_mul_f64 v[62:63], v[26:27], v[56:57]
	v_mul_f64 v[62:63], v[238:239], v[62:63]
	s_waitcnt lgkmcnt(0)
	v_fmac_f64_e32 v[40:41], v[62:63], v[64:65]
	ds_read_b64 v[64:65], v254 offset:544
	v_mul_f64 v[62:63], v[22:23], v[56:57]
	v_mul_f64 v[62:63], v[246:247], v[62:63]
	;; [unrolled: 1-line block ×4, first 2 shown]
	s_waitcnt lgkmcnt(0)
	v_fmac_f64_e32 v[40:41], v[62:63], v[64:65]
	ds_read_b64 v[62:63], v254 offset:552
	s_waitcnt lgkmcnt(0)
	v_fmac_f64_e32 v[40:41], v[56:57], v[62:63]
	ds_read_b64 v[62:63], v254 offset:560
	v_mul_f64 v[56:57], v[36:37], v[52:53]
	v_mul_f64 v[56:57], v[228:229], v[56:57]
	s_waitcnt lgkmcnt(0)
	v_fmac_f64_e32 v[40:41], v[56:57], v[62:63]
	ds_read_b64 v[62:63], v254 offset:568
	v_mul_f64 v[56:57], v[32:33], v[52:53]
	v_mul_f64 v[56:57], v[242:243], v[56:57]
	;; [unrolled: 5-line block ×4, first 2 shown]
	v_mul_f64 v[52:53], v[18:19], v[52:53]
	v_mul_f64 v[52:53], v[118:119], v[52:53]
	s_waitcnt lgkmcnt(0)
	v_fmac_f64_e32 v[40:41], v[56:57], v[62:63]
	ds_read_b64 v[56:57], v254 offset:592
	s_waitcnt lgkmcnt(0)
	v_fmac_f64_e32 v[40:41], v[52:53], v[56:57]
	ds_read_b64 v[52:53], v126 offset:96
	ds_read_b64 v[56:57], v255 offset:96
	;; [unrolled: 1-line block ×3, first 2 shown]
	s_waitcnt lgkmcnt(1)
	v_mul_f64 v[52:53], v[52:53], v[56:57]
	v_mul_f64 v[56:57], v[30:31], v[52:53]
	;; [unrolled: 1-line block ×5, first 2 shown]
	s_waitcnt lgkmcnt(0)
	v_fmac_f64_e32 v[40:41], v[64:65], v[62:63]
	ds_read_b64 v[64:65], v254 offset:608
	v_mul_f64 v[62:63], v[32:33], v[56:57]
	v_mul_f64 v[62:63], v[242:243], v[62:63]
	s_waitcnt lgkmcnt(0)
	v_fmac_f64_e32 v[40:41], v[64:65], v[62:63]
	ds_read_b64 v[64:65], v254 offset:616
	v_mul_f64 v[62:63], v[26:27], v[56:57]
	v_mul_f64 v[62:63], v[238:239], v[62:63]
	s_waitcnt lgkmcnt(0)
	v_fmac_f64_e32 v[40:41], v[64:65], v[62:63]
	ds_read_b64 v[64:65], v254 offset:624
	v_mul_f64 v[62:63], v[22:23], v[56:57]
	v_mul_f64 v[62:63], v[246:247], v[62:63]
	v_mul_f64 v[56:57], v[18:19], v[56:57]
	v_mul_f64 v[56:57], v[118:119], v[56:57]
	s_waitcnt lgkmcnt(0)
	v_fmac_f64_e32 v[40:41], v[64:65], v[62:63]
	ds_read_b64 v[62:63], v254 offset:632
	ds_read_b64 v[64:65], v254 offset:640
	s_waitcnt lgkmcnt(1)
	v_fmac_f64_e32 v[40:41], v[56:57], v[62:63]
	v_mul_f64 v[56:57], v[12:13], v[52:53]
	v_mul_f64 v[56:57], v[14:15], v[56:57]
	v_mul_f64 v[62:63], v[36:37], v[56:57]
	v_mul_f64 v[62:63], v[228:229], v[62:63]
	s_waitcnt lgkmcnt(0)
	v_fmac_f64_e32 v[40:41], v[62:63], v[64:65]
	ds_read_b64 v[64:65], v254 offset:648
	v_mul_f64 v[62:63], v[32:33], v[56:57]
	v_mul_f64 v[62:63], v[242:243], v[62:63]
	s_waitcnt lgkmcnt(0)
	v_fmac_f64_e32 v[40:41], v[62:63], v[64:65]
	ds_read_b64 v[64:65], v254 offset:656
	v_mul_f64 v[62:63], v[26:27], v[56:57]
	v_mul_f64 v[62:63], v[238:239], v[62:63]
	s_waitcnt lgkmcnt(0)
	v_fmac_f64_e32 v[40:41], v[62:63], v[64:65]
	ds_read_b64 v[64:65], v254 offset:664
	v_mul_f64 v[62:63], v[22:23], v[56:57]
	v_mul_f64 v[62:63], v[246:247], v[62:63]
	v_mul_f64 v[56:57], v[18:19], v[56:57]
	v_mul_f64 v[56:57], v[118:119], v[56:57]
	s_waitcnt lgkmcnt(0)
	v_fmac_f64_e32 v[40:41], v[62:63], v[64:65]
	ds_read_b64 v[62:63], v254 offset:672
	ds_read_b64 v[64:65], v254 offset:680
	s_waitcnt lgkmcnt(1)
	v_fmac_f64_e32 v[40:41], v[56:57], v[62:63]
	v_mul_f64 v[56:57], v[8:9], v[52:53]
	v_mul_f64 v[56:57], v[10:11], v[56:57]
	v_mul_f64 v[62:63], v[36:37], v[56:57]
	v_mul_f64 v[62:63], v[228:229], v[62:63]
	;; [unrolled: 27-line block ×3, first 2 shown]
	s_waitcnt lgkmcnt(0)
	v_fmac_f64_e32 v[40:41], v[62:63], v[64:65]
	ds_read_b64 v[64:65], v254 offset:728
	v_mul_f64 v[62:63], v[32:33], v[56:57]
	v_mul_f64 v[62:63], v[242:243], v[62:63]
	;; [unrolled: 1-line block ×4, first 2 shown]
	s_waitcnt lgkmcnt(0)
	v_fmac_f64_e32 v[40:41], v[62:63], v[64:65]
	ds_read_b64 v[64:65], v254 offset:736
	v_mul_f64 v[62:63], v[26:27], v[56:57]
	v_mul_f64 v[62:63], v[238:239], v[62:63]
	s_waitcnt lgkmcnt(0)
	v_fmac_f64_e32 v[40:41], v[62:63], v[64:65]
	ds_read_b64 v[64:65], v254 offset:744
	v_mul_f64 v[62:63], v[22:23], v[56:57]
	v_mul_f64 v[62:63], v[246:247], v[62:63]
	;; [unrolled: 1-line block ×4, first 2 shown]
	s_waitcnt lgkmcnt(0)
	v_fmac_f64_e32 v[40:41], v[62:63], v[64:65]
	ds_read_b64 v[62:63], v254 offset:752
	s_waitcnt lgkmcnt(0)
	v_fmac_f64_e32 v[40:41], v[56:57], v[62:63]
	ds_read_b64 v[62:63], v254 offset:760
	v_mul_f64 v[56:57], v[36:37], v[52:53]
	v_mul_f64 v[56:57], v[228:229], v[56:57]
	s_waitcnt lgkmcnt(0)
	v_fmac_f64_e32 v[40:41], v[56:57], v[62:63]
	ds_read_b64 v[62:63], v254 offset:768
	v_mul_f64 v[56:57], v[32:33], v[52:53]
	v_mul_f64 v[56:57], v[242:243], v[56:57]
	;; [unrolled: 5-line block ×4, first 2 shown]
	v_mul_f64 v[52:53], v[18:19], v[52:53]
	v_mul_f64 v[52:53], v[118:119], v[52:53]
	s_waitcnt lgkmcnt(0)
	v_fmac_f64_e32 v[40:41], v[56:57], v[62:63]
	ds_read_b64 v[56:57], v254 offset:792
	s_waitcnt lgkmcnt(0)
	v_fmac_f64_e32 v[40:41], v[52:53], v[56:57]
	ds_read_b64 v[52:53], v126 offset:128
	ds_read_b64 v[56:57], v255 offset:128
	s_waitcnt lgkmcnt(0)
	v_mul_f64 v[52:53], v[52:53], v[56:57]
	ds_read_b64 v[56:57], v254 offset:800
	v_mul_f64 v[30:31], v[30:31], v[52:53]
	v_mul_f64 v[28:29], v[28:29], v[30:31]
	v_mul_f64 v[30:31], v[36:37], v[28:29]
	v_mul_f64 v[30:31], v[228:229], v[30:31]
	s_waitcnt lgkmcnt(0)
	v_fmac_f64_e32 v[40:41], v[56:57], v[30:31]
	ds_read_b64 v[56:57], v254 offset:808
	v_mul_f64 v[30:31], v[32:33], v[28:29]
	v_mul_f64 v[30:31], v[242:243], v[30:31]
	v_mul_f64 v[12:13], v[12:13], v[52:53]
	v_mul_f64 v[12:13], v[14:15], v[12:13]
	s_waitcnt lgkmcnt(0)
	v_fmac_f64_e32 v[40:41], v[56:57], v[30:31]
	;; [unrolled: 7-line block ×6, first 2 shown]
	ds_read_b64 v[28:29], v254 offset:848
	v_mul_f64 v[14:15], v[32:33], v[12:13]
	v_mul_f64 v[14:15], v[242:243], v[14:15]
	s_waitcnt lgkmcnt(0)
	v_fmac_f64_e32 v[40:41], v[14:15], v[28:29]
	ds_read_b64 v[28:29], v254 offset:856
	v_mul_f64 v[14:15], v[26:27], v[12:13]
	v_mul_f64 v[14:15], v[238:239], v[14:15]
	s_waitcnt lgkmcnt(0)
	v_fmac_f64_e32 v[40:41], v[14:15], v[28:29]
	ds_read_b64 v[28:29], v254 offset:864
	v_mul_f64 v[14:15], v[22:23], v[12:13]
	v_mul_f64 v[14:15], v[246:247], v[14:15]
	;; [unrolled: 1-line block ×4, first 2 shown]
	s_waitcnt lgkmcnt(0)
	v_fmac_f64_e32 v[40:41], v[14:15], v[28:29]
	ds_read_b64 v[14:15], v254 offset:872
	s_waitcnt lgkmcnt(0)
	v_fmac_f64_e32 v[40:41], v[12:13], v[14:15]
	ds_read_b64 v[12:13], v254 offset:880
	;; [unrolled: 3-line block ×3, first 2 shown]
	v_mul_f64 v[10:11], v[32:33], v[8:9]
	v_mul_f64 v[10:11], v[242:243], v[10:11]
	s_waitcnt lgkmcnt(0)
	v_fmac_f64_e32 v[40:41], v[10:11], v[12:13]
	ds_read_b64 v[12:13], v254 offset:896
	v_mul_f64 v[10:11], v[26:27], v[8:9]
	v_mul_f64 v[10:11], v[238:239], v[10:11]
	s_waitcnt lgkmcnt(0)
	v_fmac_f64_e32 v[40:41], v[10:11], v[12:13]
	ds_read_b64 v[12:13], v254 offset:904
	v_mul_f64 v[10:11], v[22:23], v[8:9]
	v_mul_f64 v[10:11], v[246:247], v[10:11]
	;; [unrolled: 1-line block ×4, first 2 shown]
	s_waitcnt lgkmcnt(0)
	v_fmac_f64_e32 v[40:41], v[10:11], v[12:13]
	ds_read_b64 v[10:11], v254 offset:912
	s_waitcnt lgkmcnt(0)
	v_fmac_f64_e32 v[40:41], v[8:9], v[10:11]
	ds_read_b64 v[8:9], v254 offset:920
	;; [unrolled: 3-line block ×3, first 2 shown]
	v_mul_f64 v[6:7], v[32:33], v[4:5]
	v_mul_f64 v[6:7], v[242:243], v[6:7]
	s_waitcnt lgkmcnt(0)
	v_fmac_f64_e32 v[40:41], v[6:7], v[8:9]
	ds_read_b64 v[8:9], v254 offset:936
	v_mul_f64 v[6:7], v[26:27], v[4:5]
	v_mul_f64 v[6:7], v[238:239], v[6:7]
	s_waitcnt lgkmcnt(0)
	v_fmac_f64_e32 v[40:41], v[6:7], v[8:9]
	ds_read_b64 v[8:9], v254 offset:944
	v_mul_f64 v[6:7], v[22:23], v[4:5]
	v_mul_f64 v[6:7], v[246:247], v[6:7]
	;; [unrolled: 1-line block ×4, first 2 shown]
	s_waitcnt lgkmcnt(0)
	v_fmac_f64_e32 v[40:41], v[6:7], v[8:9]
	ds_read_b64 v[6:7], v254 offset:952
	ds_read_b64 v[8:9], v254 offset:960
	s_waitcnt lgkmcnt(1)
	v_fmac_f64_e32 v[40:41], v[4:5], v[6:7]
	v_mul_f64 v[4:5], v[44:45], v[52:53]
	v_mul_f64 v[4:5], v[48:49], v[4:5]
	;; [unrolled: 1-line block ×4, first 2 shown]
	s_waitcnt lgkmcnt(0)
	v_fmac_f64_e32 v[40:41], v[6:7], v[8:9]
	ds_read_b64 v[8:9], v254 offset:968
	v_mul_f64 v[6:7], v[32:33], v[4:5]
	v_mul_f64 v[6:7], v[242:243], v[6:7]
	s_waitcnt lgkmcnt(0)
	v_fmac_f64_e32 v[40:41], v[6:7], v[8:9]
	ds_read_b64 v[8:9], v254 offset:976
	v_mul_f64 v[6:7], v[26:27], v[4:5]
	v_mul_f64 v[6:7], v[238:239], v[6:7]
	;; [unrolled: 5-line block ×3, first 2 shown]
	v_mul_f64 v[4:5], v[18:19], v[4:5]
	v_mul_f64 v[4:5], v[118:119], v[4:5]
	s_waitcnt lgkmcnt(0)
	v_fmac_f64_e32 v[40:41], v[6:7], v[8:9]
	ds_read_b64 v[6:7], v254 offset:992
	s_waitcnt lgkmcnt(0)
	v_fmac_f64_e32 v[40:41], v[4:5], v[6:7]
	global_store_dwordx2 v[122:123], v[40:41], off offset:2048
	ds_read_b64 v[12:13], v125
	ds_read_b64 v[10:11], v125 offset:32
	ds_read_b64 v[8:9], v125 offset:64
	;; [unrolled: 1-line block ×4, first 2 shown]
	ds_read_b64 v[32:33], v124
	ds_read_b64 v[30:31], v124 offset:32
	ds_read_b64 v[28:29], v124 offset:64
	;; [unrolled: 1-line block ×5, first 2 shown]
	ds_read_b64 v[14:15], v126
	ds_read_b64 v[36:37], v126 offset:32
	ds_read_b64 v[40:41], v255
	ds_read_b64 v[44:45], v255 offset:32
	s_waitcnt lgkmcnt(1)
	v_mul_f64 v[40:41], v[14:15], v[40:41]
	v_mul_f64 v[14:15], v[32:33], v[40:41]
	;; [unrolled: 1-line block ×6, first 2 shown]
	v_fma_f64 v[14:15], v[152:153], v[14:15], 0
	v_mul_f64 v[52:53], v[220:221], v[52:53]
	v_fmac_f64_e32 v[14:15], v[150:151], v[52:53]
	v_mul_f64 v[52:53], v[8:9], v[48:49]
	v_mul_f64 v[52:53], v[234:235], v[52:53]
	v_fmac_f64_e32 v[14:15], v[148:149], v[52:53]
	v_mul_f64 v[52:53], v[6:7], v[48:49]
	v_mul_f64 v[52:53], v[230:231], v[52:53]
	v_mul_f64 v[48:49], v[4:5], v[48:49]
	v_fmac_f64_e32 v[14:15], v[146:147], v[52:53]
	v_mul_f64 v[48:49], v[120:121], v[48:49]
	v_fmac_f64_e32 v[14:15], v[48:49], v[142:143]
	v_mul_f64 v[48:49], v[30:31], v[40:41]
	v_mul_f64 v[48:49], v[200:201], v[48:49]
	v_mul_f64 v[52:53], v[12:13], v[48:49]
	v_mul_f64 v[52:53], v[224:225], v[52:53]
	v_fmac_f64_e32 v[14:15], v[52:53], v[144:145]
	v_mul_f64 v[52:53], v[10:11], v[48:49]
	v_mul_f64 v[52:53], v[220:221], v[52:53]
	v_fmac_f64_e32 v[14:15], v[52:53], v[182:183]
	v_mul_f64 v[52:53], v[8:9], v[48:49]
	v_mul_f64 v[52:53], v[234:235], v[52:53]
	v_fmac_f64_e32 v[14:15], v[52:53], v[136:137]
	v_mul_f64 v[52:53], v[6:7], v[48:49]
	v_mul_f64 v[52:53], v[230:231], v[52:53]
	v_mul_f64 v[48:49], v[4:5], v[48:49]
	v_fmac_f64_e32 v[14:15], v[52:53], v[194:195]
	v_mul_f64 v[48:49], v[120:121], v[48:49]
	v_fmac_f64_e32 v[14:15], v[48:49], v[132:133]
	v_mul_f64 v[48:49], v[28:29], v[40:41]
	v_mul_f64 v[48:49], v[196:197], v[48:49]
	v_mul_f64 v[52:53], v[12:13], v[48:49]
	v_mul_f64 v[52:53], v[224:225], v[52:53]
	v_fmac_f64_e32 v[14:15], v[52:53], v[108:109]
	v_mul_f64 v[52:53], v[10:11], v[48:49]
	;; [unrolled: 17-line block ×3, first 2 shown]
	v_mul_f64 v[52:53], v[220:221], v[52:53]
	v_fmac_f64_e32 v[14:15], v[52:53], v[90:91]
	v_mul_f64 v[52:53], v[8:9], v[48:49]
	v_mul_f64 v[52:53], v[234:235], v[52:53]
	v_fmac_f64_e32 v[14:15], v[52:53], v[86:87]
	v_mul_f64 v[52:53], v[6:7], v[48:49]
	v_mul_f64 v[52:53], v[230:231], v[52:53]
	;; [unrolled: 1-line block ×4, first 2 shown]
	v_fmac_f64_e32 v[14:15], v[52:53], v[82:83]
	v_mul_f64 v[48:49], v[120:121], v[48:49]
	v_mul_f64 v[40:41], v[22:23], v[40:41]
	v_fmac_f64_e32 v[14:15], v[48:49], v[218:219]
	v_mul_f64 v[48:49], v[12:13], v[40:41]
	v_mul_f64 v[48:49], v[224:225], v[48:49]
	;; [unrolled: 3-line block ×5, first 2 shown]
	v_mul_f64 v[40:41], v[4:5], v[40:41]
	v_fmac_f64_e32 v[14:15], v[46:47], v[42:43]
	v_mul_f64 v[40:41], v[120:121], v[40:41]
	s_waitcnt lgkmcnt(0)
	v_mul_f64 v[36:37], v[36:37], v[44:45]
	v_fmac_f64_e32 v[14:15], v[40:41], v[60:61]
	v_mul_f64 v[40:41], v[32:33], v[36:37]
	v_mul_f64 v[40:41], v[190:191], v[40:41]
	;; [unrolled: 1-line block ×4, first 2 shown]
	v_fmac_f64_e32 v[14:15], v[38:39], v[42:43]
	v_mul_f64 v[38:39], v[10:11], v[40:41]
	v_mul_f64 v[38:39], v[220:221], v[38:39]
	v_fmac_f64_e32 v[14:15], v[34:35], v[38:39]
	v_mul_f64 v[34:35], v[8:9], v[40:41]
	v_mul_f64 v[34:35], v[234:235], v[34:35]
	;; [unrolled: 3-line block ×3, first 2 shown]
	v_fmac_f64_e32 v[14:15], v[24:25], v[2:3]
	v_mul_f64 v[2:3], v[4:5], v[40:41]
	buffer_load_dword v38, off, s[20:23], 0 offset:1656 ; 4-byte Folded Reload
	buffer_load_dword v39, off, s[20:23], 0 offset:1660 ; 4-byte Folded Reload
	;; [unrolled: 1-line block ×4, first 2 shown]
	v_mul_f64 v[2:3], v[120:121], v[2:3]
	v_fmac_f64_e32 v[14:15], v[2:3], v[250:251]
	v_mul_f64 v[2:3], v[30:31], v[36:37]
	v_mul_f64 v[2:3], v[200:201], v[2:3]
	;; [unrolled: 1-line block ×4, first 2 shown]
	v_fmac_f64_e32 v[14:15], v[24:25], v[20:21]
	v_mul_f64 v[20:21], v[10:11], v[2:3]
	v_mul_f64 v[20:21], v[220:221], v[20:21]
	v_fmac_f64_e32 v[14:15], v[20:21], v[16:17]
	v_mul_f64 v[16:17], v[8:9], v[2:3]
	v_mul_f64 v[16:17], v[234:235], v[16:17]
	v_fmac_f64_e32 v[14:15], v[16:17], v[154:155]
	v_mul_f64 v[16:17], v[6:7], v[2:3]
	v_accvgpr_read_b32 v20, a50
	v_mul_f64 v[16:17], v[230:231], v[16:17]
	v_accvgpr_read_b32 v21, a51
	v_mul_f64 v[2:3], v[4:5], v[2:3]
	v_fmac_f64_e32 v[14:15], v[16:17], v[20:21]
	v_mul_f64 v[2:3], v[120:121], v[2:3]
	v_accvgpr_read_b32 v148, a252
	v_accvgpr_read_b32 v149, a253
	;; [unrolled: 1-line block ×12, first 2 shown]
	s_waitcnt vmcnt(2)
	v_fmac_f64_e32 v[14:15], v[2:3], v[38:39]
	buffer_load_dword v38, off, s[20:23], 0 offset:1672 ; 4-byte Folded Reload
	buffer_load_dword v39, off, s[20:23], 0 offset:1676 ; 4-byte Folded Reload
	;; [unrolled: 1-line block ×4, first 2 shown]
	v_mul_f64 v[2:3], v[28:29], v[36:37]
	v_mul_f64 v[2:3], v[196:197], v[2:3]
	;; [unrolled: 1-line block ×4, first 2 shown]
	s_waitcnt vmcnt(2)
	v_fmac_f64_e32 v[14:15], v[16:17], v[38:39]
	buffer_load_dword v38, off, s[20:23], 0 offset:1576 ; 4-byte Folded Reload
	buffer_load_dword v39, off, s[20:23], 0 offset:1580 ; 4-byte Folded Reload
	;; [unrolled: 1-line block ×4, first 2 shown]
	v_mul_f64 v[16:17], v[10:11], v[2:3]
	v_mul_f64 v[16:17], v[220:221], v[16:17]
	v_fmac_f64_e32 v[14:15], v[16:17], v[156:157]
	v_mul_f64 v[16:17], v[8:9], v[2:3]
	v_mul_f64 v[16:17], v[234:235], v[16:17]
	s_waitcnt vmcnt(2)
	v_fmac_f64_e32 v[14:15], v[16:17], v[38:39]
	buffer_load_dword v38, off, s[20:23], 0 offset:1704 ; 4-byte Folded Reload
	buffer_load_dword v39, off, s[20:23], 0 offset:1708 ; 4-byte Folded Reload
	;; [unrolled: 1-line block ×4, first 2 shown]
	v_mul_f64 v[16:17], v[6:7], v[2:3]
	v_mul_f64 v[16:17], v[230:231], v[16:17]
	;; [unrolled: 1-line block ×4, first 2 shown]
	s_waitcnt vmcnt(2)
	v_fmac_f64_e32 v[14:15], v[16:17], v[38:39]
	buffer_load_dword v38, off, s[20:23], 0 offset:1624 ; 4-byte Folded Reload
	buffer_load_dword v39, off, s[20:23], 0 offset:1628 ; 4-byte Folded Reload
	;; [unrolled: 1-line block ×4, first 2 shown]
	s_waitcnt vmcnt(2)
	v_fmac_f64_e32 v[14:15], v[2:3], v[38:39]
	buffer_load_dword v38, off, s[20:23], 0 offset:1608 ; 4-byte Folded Reload
	buffer_load_dword v39, off, s[20:23], 0 offset:1612 ; 4-byte Folded Reload
	;; [unrolled: 1-line block ×4, first 2 shown]
	v_mul_f64 v[2:3], v[26:27], v[36:37]
	v_mul_f64 v[2:3], v[204:205], v[2:3]
	;; [unrolled: 1-line block ×4, first 2 shown]
	s_waitcnt vmcnt(2)
	v_fmac_f64_e32 v[14:15], v[16:17], v[38:39]
	v_mul_f64 v[16:17], v[10:11], v[2:3]
	v_mul_f64 v[16:17], v[220:221], v[16:17]
	v_fmac_f64_e32 v[14:15], v[16:17], v[148:149]
	v_mul_f64 v[16:17], v[8:9], v[2:3]
	v_mul_f64 v[16:17], v[234:235], v[16:17]
	;; [unrolled: 3-line block ×3, first 2 shown]
	v_fmac_f64_e32 v[14:15], v[16:17], v[144:145]
	v_mul_f64 v[2:3], v[4:5], v[2:3]
	v_accvgpr_read_b32 v16, a240
	v_mul_f64 v[2:3], v[120:121], v[2:3]
	v_accvgpr_read_b32 v17, a241
	v_fmac_f64_e32 v[14:15], v[2:3], v[16:17]
	v_mul_f64 v[2:3], v[18:19], v[36:37]
	v_mul_f64 v[2:3], v[22:23], v[2:3]
	;; [unrolled: 1-line block ×3, first 2 shown]
	v_accvgpr_read_b32 v20, a244
	v_mul_f64 v[16:17], v[224:225], v[16:17]
	v_accvgpr_read_b32 v21, a245
	v_fmac_f64_e32 v[14:15], v[16:17], v[20:21]
	v_mul_f64 v[16:17], v[10:11], v[2:3]
	v_mul_f64 v[16:17], v[220:221], v[16:17]
	v_fmac_f64_e32 v[14:15], v[16:17], v[140:141]
	v_mul_f64 v[16:17], v[8:9], v[2:3]
	v_accvgpr_read_b32 v20, a238
	v_mul_f64 v[16:17], v[234:235], v[16:17]
	v_accvgpr_read_b32 v21, a239
	v_fmac_f64_e32 v[14:15], v[16:17], v[20:21]
	v_mul_f64 v[16:17], v[6:7], v[2:3]
	v_mul_f64 v[16:17], v[230:231], v[16:17]
	;; [unrolled: 1-line block ×3, first 2 shown]
	v_fmac_f64_e32 v[14:15], v[16:17], v[136:137]
	v_mul_f64 v[2:3], v[120:121], v[2:3]
	v_fmac_f64_e32 v[14:15], v[2:3], v[132:133]
	ds_read_b64 v[2:3], v126 offset:64
	ds_read_b64 v[16:17], v255 offset:64
	v_accvgpr_read_b32 v132, a230
	v_accvgpr_read_b32 v133, a231
	s_waitcnt lgkmcnt(0)
	v_mul_f64 v[2:3], v[2:3], v[16:17]
	v_mul_f64 v[16:17], v[32:33], v[2:3]
	;; [unrolled: 1-line block ×5, first 2 shown]
	v_fmac_f64_e32 v[14:15], v[24:25], v[20:21]
	v_mul_f64 v[20:21], v[10:11], v[16:17]
	v_mul_f64 v[20:21], v[220:221], v[20:21]
	v_fmac_f64_e32 v[14:15], v[132:133], v[20:21]
	v_mul_f64 v[20:21], v[8:9], v[16:17]
	v_accvgpr_read_b32 v24, a226
	v_mul_f64 v[20:21], v[234:235], v[20:21]
	v_accvgpr_read_b32 v25, a227
	v_fmac_f64_e32 v[14:15], v[24:25], v[20:21]
	v_mul_f64 v[20:21], v[6:7], v[16:17]
	v_accvgpr_read_b32 v24, a222
	v_mul_f64 v[20:21], v[230:231], v[20:21]
	v_accvgpr_read_b32 v25, a223
	v_fmac_f64_e32 v[14:15], v[24:25], v[20:21]
	v_mul_f64 v[16:17], v[4:5], v[16:17]
	v_accvgpr_read_b32 v20, a42
	v_mul_f64 v[16:17], v[120:121], v[16:17]
	v_accvgpr_read_b32 v21, a43
	v_fmac_f64_e32 v[14:15], v[16:17], v[20:21]
	v_mul_f64 v[16:17], v[30:31], v[2:3]
	v_mul_f64 v[16:17], v[200:201], v[16:17]
	v_mul_f64 v[20:21], v[12:13], v[16:17]
	v_accvgpr_read_b32 v24, a216
	v_mul_f64 v[20:21], v[224:225], v[20:21]
	v_accvgpr_read_b32 v25, a217
	v_fmac_f64_e32 v[14:15], v[20:21], v[24:25]
	v_mul_f64 v[20:21], v[10:11], v[16:17]
	v_accvgpr_read_b32 v24, a212
	v_mul_f64 v[20:21], v[220:221], v[20:21]
	v_accvgpr_read_b32 v25, a213
	v_fmac_f64_e32 v[14:15], v[20:21], v[24:25]
	v_mul_f64 v[20:21], v[8:9], v[16:17]
	v_accvgpr_read_b32 v24, a208
	v_mul_f64 v[20:21], v[234:235], v[20:21]
	v_accvgpr_read_b32 v25, a209
	v_fmac_f64_e32 v[14:15], v[20:21], v[24:25]
	v_mul_f64 v[20:21], v[6:7], v[16:17]
	v_accvgpr_read_b32 v24, a204
	v_mul_f64 v[20:21], v[230:231], v[20:21]
	v_accvgpr_read_b32 v25, a205
	v_fmac_f64_e32 v[14:15], v[20:21], v[24:25]
	v_mul_f64 v[16:17], v[4:5], v[16:17]
	v_accvgpr_read_b32 v20, a38
	v_mul_f64 v[16:17], v[120:121], v[16:17]
	v_accvgpr_read_b32 v21, a39
	v_fmac_f64_e32 v[14:15], v[16:17], v[20:21]
	v_mul_f64 v[16:17], v[28:29], v[2:3]
	v_mul_f64 v[16:17], v[196:197], v[16:17]
	v_mul_f64 v[20:21], v[12:13], v[16:17]
	v_accvgpr_read_b32 v24, a200
	v_mul_f64 v[20:21], v[224:225], v[20:21]
	v_accvgpr_read_b32 v25, a201
	v_fmac_f64_e32 v[14:15], v[20:21], v[24:25]
	v_mul_f64 v[20:21], v[10:11], v[16:17]
	v_accvgpr_read_b32 v24, a196
	v_mul_f64 v[20:21], v[220:221], v[20:21]
	v_accvgpr_read_b32 v25, a197
	;; [unrolled: 27-line block ×3, first 2 shown]
	v_fmac_f64_e32 v[14:15], v[20:21], v[24:25]
	v_mul_f64 v[20:21], v[8:9], v[16:17]
	v_accvgpr_read_b32 v24, a176
	v_mul_f64 v[20:21], v[234:235], v[20:21]
	v_accvgpr_read_b32 v25, a177
	v_fmac_f64_e32 v[14:15], v[20:21], v[24:25]
	v_mul_f64 v[20:21], v[6:7], v[16:17]
	v_accvgpr_read_b32 v24, a172
	v_mul_f64 v[20:21], v[230:231], v[20:21]
	v_accvgpr_read_b32 v25, a173
	v_fmac_f64_e32 v[14:15], v[20:21], v[24:25]
	v_mul_f64 v[16:17], v[4:5], v[16:17]
	v_accvgpr_read_b32 v20, a30
	v_mul_f64 v[2:3], v[18:19], v[2:3]
	v_mul_f64 v[16:17], v[120:121], v[16:17]
	v_accvgpr_read_b32 v21, a31
	v_mul_f64 v[2:3], v[22:23], v[2:3]
	v_fmac_f64_e32 v[14:15], v[16:17], v[20:21]
	v_mul_f64 v[16:17], v[12:13], v[2:3]
	v_accvgpr_read_b32 v20, a168
	v_mul_f64 v[16:17], v[224:225], v[16:17]
	v_accvgpr_read_b32 v21, a169
	v_fmac_f64_e32 v[14:15], v[16:17], v[20:21]
	v_mul_f64 v[16:17], v[10:11], v[2:3]
	v_accvgpr_read_b32 v20, a164
	v_mul_f64 v[16:17], v[220:221], v[16:17]
	v_accvgpr_read_b32 v21, a165
	;; [unrolled: 5-line block ×5, first 2 shown]
	v_fmac_f64_e32 v[14:15], v[2:3], v[16:17]
	ds_read_b64 v[2:3], v126 offset:96
	ds_read_b64 v[16:17], v255 offset:96
	v_accvgpr_read_b32 v24, a152
	v_accvgpr_read_b32 v25, a153
	s_waitcnt lgkmcnt(0)
	v_mul_f64 v[2:3], v[2:3], v[16:17]
	v_mul_f64 v[16:17], v[32:33], v[2:3]
	;; [unrolled: 1-line block ×5, first 2 shown]
	v_fmac_f64_e32 v[14:15], v[24:25], v[20:21]
	v_mul_f64 v[20:21], v[10:11], v[16:17]
	v_accvgpr_read_b32 v24, a148
	v_mul_f64 v[20:21], v[220:221], v[20:21]
	v_accvgpr_read_b32 v25, a149
	v_fmac_f64_e32 v[14:15], v[24:25], v[20:21]
	v_mul_f64 v[20:21], v[8:9], v[16:17]
	v_accvgpr_read_b32 v24, a144
	v_mul_f64 v[20:21], v[234:235], v[20:21]
	v_accvgpr_read_b32 v25, a145
	v_fmac_f64_e32 v[14:15], v[24:25], v[20:21]
	v_mul_f64 v[20:21], v[6:7], v[16:17]
	v_accvgpr_read_b32 v24, a140
	v_mul_f64 v[20:21], v[230:231], v[20:21]
	v_accvgpr_read_b32 v25, a141
	v_fmac_f64_e32 v[14:15], v[24:25], v[20:21]
	v_mul_f64 v[16:17], v[4:5], v[16:17]
	v_accvgpr_read_b32 v20, a26
	v_mul_f64 v[16:17], v[120:121], v[16:17]
	v_accvgpr_read_b32 v21, a27
	v_fmac_f64_e32 v[14:15], v[16:17], v[20:21]
	v_mul_f64 v[16:17], v[30:31], v[2:3]
	v_mul_f64 v[16:17], v[200:201], v[16:17]
	v_mul_f64 v[20:21], v[12:13], v[16:17]
	v_accvgpr_read_b32 v24, a132
	v_mul_f64 v[20:21], v[224:225], v[20:21]
	v_accvgpr_read_b32 v25, a133
	v_fmac_f64_e32 v[14:15], v[20:21], v[24:25]
	v_mul_f64 v[20:21], v[10:11], v[16:17]
	v_accvgpr_read_b32 v24, a128
	v_mul_f64 v[20:21], v[220:221], v[20:21]
	v_accvgpr_read_b32 v25, a129
	v_fmac_f64_e32 v[14:15], v[20:21], v[24:25]
	v_mul_f64 v[20:21], v[8:9], v[16:17]
	v_accvgpr_read_b32 v24, a124
	v_mul_f64 v[20:21], v[234:235], v[20:21]
	v_accvgpr_read_b32 v25, a125
	v_fmac_f64_e32 v[14:15], v[20:21], v[24:25]
	v_mul_f64 v[20:21], v[6:7], v[16:17]
	v_accvgpr_read_b32 v24, a120
	v_mul_f64 v[20:21], v[230:231], v[20:21]
	v_accvgpr_read_b32 v25, a121
	v_fmac_f64_e32 v[14:15], v[20:21], v[24:25]
	v_mul_f64 v[16:17], v[4:5], v[16:17]
	v_accvgpr_read_b32 v20, a22
	v_mul_f64 v[16:17], v[120:121], v[16:17]
	v_accvgpr_read_b32 v21, a23
	v_fmac_f64_e32 v[14:15], v[16:17], v[20:21]
	v_mul_f64 v[16:17], v[28:29], v[2:3]
	v_mul_f64 v[16:17], v[196:197], v[16:17]
	v_mul_f64 v[20:21], v[12:13], v[16:17]
	v_accvgpr_read_b32 v24, a116
	v_mul_f64 v[20:21], v[224:225], v[20:21]
	v_accvgpr_read_b32 v25, a117
	;; [unrolled: 27-line block ×3, first 2 shown]
	v_fmac_f64_e32 v[14:15], v[20:21], v[24:25]
	v_mul_f64 v[20:21], v[10:11], v[16:17]
	v_accvgpr_read_b32 v24, a96
	v_mul_f64 v[20:21], v[220:221], v[20:21]
	v_accvgpr_read_b32 v25, a97
	v_fmac_f64_e32 v[14:15], v[20:21], v[24:25]
	v_mul_f64 v[20:21], v[8:9], v[16:17]
	v_accvgpr_read_b32 v24, a92
	v_mul_f64 v[20:21], v[234:235], v[20:21]
	v_accvgpr_read_b32 v25, a93
	;; [unrolled: 5-line block ×3, first 2 shown]
	v_fmac_f64_e32 v[14:15], v[20:21], v[24:25]
	v_mul_f64 v[16:17], v[4:5], v[16:17]
	v_accvgpr_read_b32 v21, a15
	v_mul_f64 v[2:3], v[18:19], v[2:3]
	v_mul_f64 v[16:17], v[120:121], v[16:17]
	v_accvgpr_read_b32 v20, a14
	v_mul_f64 v[2:3], v[22:23], v[2:3]
	v_fmac_f64_e32 v[14:15], v[16:17], v[20:21]
	v_mul_f64 v[16:17], v[12:13], v[2:3]
	v_accvgpr_read_b32 v20, a84
	v_mul_f64 v[16:17], v[224:225], v[16:17]
	v_accvgpr_read_b32 v21, a85
	v_fmac_f64_e32 v[14:15], v[16:17], v[20:21]
	v_mul_f64 v[16:17], v[10:11], v[2:3]
	v_accvgpr_read_b32 v20, a80
	v_mul_f64 v[16:17], v[220:221], v[16:17]
	v_accvgpr_read_b32 v21, a81
	;; [unrolled: 5-line block ×5, first 2 shown]
	v_fmac_f64_e32 v[14:15], v[2:3], v[16:17]
	ds_read_b64 v[2:3], v126 offset:128
	ds_read_b64 v[16:17], v255 offset:128
	v_accvgpr_read_b32 v24, a68
	v_accvgpr_read_b32 v25, a69
	s_waitcnt lgkmcnt(0)
	v_mul_f64 v[2:3], v[2:3], v[16:17]
	v_mul_f64 v[16:17], v[32:33], v[2:3]
	;; [unrolled: 1-line block ×5, first 2 shown]
	v_fmac_f64_e32 v[14:15], v[24:25], v[20:21]
	v_mul_f64 v[20:21], v[10:11], v[16:17]
	v_accvgpr_read_b32 v24, a64
	v_mul_f64 v[20:21], v[220:221], v[20:21]
	v_accvgpr_read_b32 v25, a65
	v_fmac_f64_e32 v[14:15], v[24:25], v[20:21]
	v_mul_f64 v[20:21], v[8:9], v[16:17]
	v_accvgpr_read_b32 v24, a60
	v_mul_f64 v[20:21], v[234:235], v[20:21]
	v_accvgpr_read_b32 v25, a61
	v_fmac_f64_e32 v[14:15], v[24:25], v[20:21]
	v_mul_f64 v[20:21], v[6:7], v[16:17]
	v_accvgpr_read_b32 v24, a56
	v_mul_f64 v[20:21], v[230:231], v[20:21]
	v_accvgpr_read_b32 v25, a57
	v_fmac_f64_e32 v[14:15], v[24:25], v[20:21]
	v_mul_f64 v[16:17], v[4:5], v[16:17]
	v_accvgpr_read_b32 v21, a11
	v_mul_f64 v[16:17], v[120:121], v[16:17]
	v_accvgpr_read_b32 v20, a10
	v_fmac_f64_e32 v[14:15], v[16:17], v[20:21]
	v_mul_f64 v[16:17], v[30:31], v[2:3]
	v_mul_f64 v[16:17], v[200:201], v[16:17]
	v_mul_f64 v[20:21], v[12:13], v[16:17]
	v_accvgpr_read_b32 v24, a48
	v_mul_f64 v[20:21], v[224:225], v[20:21]
	v_accvgpr_read_b32 v25, a49
	v_fmac_f64_e32 v[14:15], v[20:21], v[24:25]
	v_mul_f64 v[20:21], v[10:11], v[16:17]
	v_accvgpr_read_b32 v24, a44
	v_mul_f64 v[20:21], v[220:221], v[20:21]
	v_accvgpr_read_b32 v25, a45
	v_fmac_f64_e32 v[14:15], v[20:21], v[24:25]
	v_mul_f64 v[20:21], v[8:9], v[16:17]
	v_accvgpr_read_b32 v24, a40
	v_mul_f64 v[20:21], v[234:235], v[20:21]
	v_accvgpr_read_b32 v25, a41
	v_fmac_f64_e32 v[14:15], v[20:21], v[24:25]
	v_mul_f64 v[20:21], v[6:7], v[16:17]
	v_accvgpr_read_b32 v24, a36
	v_mul_f64 v[20:21], v[230:231], v[20:21]
	v_accvgpr_read_b32 v25, a37
	v_fmac_f64_e32 v[14:15], v[20:21], v[24:25]
	v_mul_f64 v[16:17], v[4:5], v[16:17]
	v_accvgpr_read_b32 v21, a7
	v_mul_f64 v[16:17], v[120:121], v[16:17]
	v_accvgpr_read_b32 v20, a6
	v_fmac_f64_e32 v[14:15], v[16:17], v[20:21]
	v_mul_f64 v[16:17], v[28:29], v[2:3]
	v_mul_f64 v[16:17], v[196:197], v[16:17]
	v_mul_f64 v[20:21], v[12:13], v[16:17]
	v_accvgpr_read_b32 v24, a32
	v_mul_f64 v[20:21], v[224:225], v[20:21]
	v_accvgpr_read_b32 v25, a33
	;; [unrolled: 27-line block ×3, first 2 shown]
	v_fmac_f64_e32 v[14:15], v[20:21], v[24:25]
	v_mul_f64 v[20:21], v[10:11], v[16:17]
	v_accvgpr_read_b32 v25, a13
	v_mul_f64 v[20:21], v[220:221], v[20:21]
	v_accvgpr_read_b32 v24, a12
	v_fmac_f64_e32 v[14:15], v[20:21], v[24:25]
	v_mul_f64 v[20:21], v[8:9], v[16:17]
	v_accvgpr_read_b32 v25, a9
	v_mul_f64 v[20:21], v[234:235], v[20:21]
	v_accvgpr_read_b32 v24, a8
	;; [unrolled: 5-line block ×3, first 2 shown]
	v_mul_f64 v[2:3], v[18:19], v[2:3]
	v_fmac_f64_e32 v[14:15], v[20:21], v[24:25]
	v_mul_f64 v[16:17], v[4:5], v[16:17]
	v_accvgpr_read_b32 v21, a1
	v_mul_f64 v[2:3], v[22:23], v[2:3]
	v_mul_f64 v[16:17], v[120:121], v[16:17]
	v_accvgpr_read_b32 v20, a0
	v_mul_f64 v[12:13], v[12:13], v[2:3]
	v_fmac_f64_e32 v[14:15], v[16:17], v[20:21]
	v_mul_f64 v[12:13], v[224:225], v[12:13]
	v_mul_f64 v[10:11], v[10:11], v[2:3]
	;; [unrolled: 1-line block ×5, first 2 shown]
	ds_read_b64 v[4:5], v254 offset:992
	v_fmac_f64_e32 v[14:15], v[12:13], v[186:187]
	v_mul_f64 v[10:11], v[220:221], v[10:11]
	v_fmac_f64_e32 v[14:15], v[10:11], v[178:179]
	v_mul_f64 v[8:9], v[234:235], v[8:9]
	;; [unrolled: 2-line block ×4, first 2 shown]
	s_waitcnt lgkmcnt(0)
	v_fmac_f64_e32 v[14:15], v[2:3], v[4:5]
	global_store_dwordx2 v[158:159], v[14:15], off offset:2048
	ds_read_b64 v[16:17], v125 offset:128
	ds_read_b64 v[18:19], v254 offset:1160
	;; [unrolled: 1-line block ×3, first 2 shown]
	buffer_load_dword v6, off, s[20:23], 0 offset:1096 ; 4-byte Folded Reload
	buffer_load_dword v7, off, s[20:23], 0 offset:1100 ; 4-byte Folded Reload
	buffer_load_dword v8, off, s[20:23], 0 offset:1104 ; 4-byte Folded Reload
	buffer_load_dword v9, off, s[20:23], 0 offset:1108 ; 4-byte Folded Reload
	buffer_load_dword v2, off, s[20:23], 0 offset:1496 ; 4-byte Folded Reload
	buffer_load_dword v3, off, s[20:23], 0 offset:1500 ; 4-byte Folded Reload
	buffer_load_dword v4, off, s[20:23], 0 offset:1504 ; 4-byte Folded Reload
	buffer_load_dword v5, off, s[20:23], 0 offset:1508 ; 4-byte Folded Reload
	buffer_load_dword v12, off, s[20:23], 0 offset:1528 ; 4-byte Folded Reload
	buffer_load_dword v13, off, s[20:23], 0 offset:1532 ; 4-byte Folded Reload
	buffer_load_dword v14, off, s[20:23], 0 offset:1536 ; 4-byte Folded Reload
	buffer_load_dword v15, off, s[20:23], 0 offset:1540 ; 4-byte Folded Reload
	s_waitcnt vmcnt(8)
	v_accvgpr_read_b32 v8, a182
	v_accvgpr_read_b32 v9, a183
	s_waitcnt vmcnt(6)
	v_mul_f64 v[2:3], v[2:3], v[6:7]
	s_waitcnt vmcnt(2)
	v_mul_f64 v[4:5], v[12:13], v[2:3]
	v_mul_f64 v[4:5], v[184:185], v[4:5]
	;; [unrolled: 1-line block ×4, first 2 shown]
	v_fma_f64 v[22:23], v[8:9], v[6:7], 0
	buffer_load_dword v8, off, s[20:23], 0 offset:1464 ; 4-byte Folded Reload
	buffer_load_dword v9, off, s[20:23], 0 offset:1468 ; 4-byte Folded Reload
	buffer_load_dword v10, off, s[20:23], 0 offset:1472 ; 4-byte Folded Reload
	buffer_load_dword v11, off, s[20:23], 0 offset:1476 ; 4-byte Folded Reload
	v_mul_f64 v[6:7], v[180:181], v[4:5]
	v_mul_f64 v[6:7], v[176:177], v[6:7]
	s_waitcnt vmcnt(2)
	v_fmac_f64_e32 v[22:23], v[8:9], v[6:7]
	buffer_load_dword v8, off, s[20:23], 0 offset:1448 ; 4-byte Folded Reload
	buffer_load_dword v9, off, s[20:23], 0 offset:1452 ; 4-byte Folded Reload
	;; [unrolled: 1-line block ×4, first 2 shown]
	v_mul_f64 v[6:7], v[172:173], v[4:5]
	v_mul_f64 v[6:7], v[168:169], v[6:7]
	s_waitcnt vmcnt(2)
	v_fmac_f64_e32 v[22:23], v[8:9], v[6:7]
	v_mul_f64 v[6:7], v[0:1], v[4:5]
	v_accvgpr_read_b32 v8, a126
	v_mul_f64 v[6:7], v[164:165], v[6:7]
	v_accvgpr_read_b32 v9, a127
	v_fmac_f64_e32 v[22:23], v[8:9], v[6:7]
	buffer_load_dword v6, off, s[20:23], 0 offset:1256 ; 4-byte Folded Reload
	buffer_load_dword v7, off, s[20:23], 0 offset:1260 ; 4-byte Folded Reload
	;; [unrolled: 1-line block ×8, first 2 shown]
	s_waitcnt lgkmcnt(2)
	v_mul_f64 v[4:5], v[16:17], v[4:5]
	s_waitcnt lgkmcnt(1)
	v_mul_f64 v[4:5], v[18:19], v[4:5]
	s_waitcnt vmcnt(6)
	v_fmac_f64_e32 v[22:23], v[4:5], v[6:7]
	v_mul_f64 v[4:5], v[208:209], v[2:3]
	v_mul_f64 v[4:5], v[176:177], v[4:5]
	;; [unrolled: 1-line block ×4, first 2 shown]
	s_waitcnt vmcnt(2)
	v_fmac_f64_e32 v[22:23], v[6:7], v[8:9]
	buffer_load_dword v8, off, s[20:23], 0 offset:1640 ; 4-byte Folded Reload
	buffer_load_dword v9, off, s[20:23], 0 offset:1644 ; 4-byte Folded Reload
	;; [unrolled: 1-line block ×4, first 2 shown]
	v_mul_f64 v[6:7], v[180:181], v[4:5]
	v_mul_f64 v[6:7], v[176:177], v[6:7]
	s_waitcnt vmcnt(2)
	v_fmac_f64_e32 v[22:23], v[6:7], v[8:9]
	v_mul_f64 v[6:7], v[172:173], v[4:5]
	v_accvgpr_read_b32 v8, a130
	v_mul_f64 v[6:7], v[168:169], v[6:7]
	v_accvgpr_read_b32 v9, a131
	v_fmac_f64_e32 v[22:23], v[6:7], v[8:9]
	buffer_load_dword v8, off, s[20:23], 0 offset:1272 ; 4-byte Folded Reload
	buffer_load_dword v9, off, s[20:23], 0 offset:1276 ; 4-byte Folded Reload
	;; [unrolled: 1-line block ×4, first 2 shown]
	v_mul_f64 v[6:7], v[0:1], v[4:5]
	v_mul_f64 v[6:7], v[164:165], v[6:7]
	;; [unrolled: 1-line block ×4, first 2 shown]
	s_waitcnt vmcnt(2)
	v_fmac_f64_e32 v[22:23], v[6:7], v[8:9]
	buffer_load_dword v6, off, s[20:23], 0 offset:1288 ; 4-byte Folded Reload
	buffer_load_dword v7, off, s[20:23], 0 offset:1292 ; 4-byte Folded Reload
	;; [unrolled: 1-line block ×4, first 2 shown]
	s_waitcnt vmcnt(0)
	v_accvgpr_read_b32 v8, a134
	v_accvgpr_read_b32 v9, a135
	v_fmac_f64_e32 v[22:23], v[4:5], v[6:7]
	buffer_load_dword v4, off, s[20:23], 0 offset:1512 ; 4-byte Folded Reload
	buffer_load_dword v5, off, s[20:23], 0 offset:1516 ; 4-byte Folded Reload
	;; [unrolled: 1-line block ×12, first 2 shown]
	s_waitcnt vmcnt(10)
	v_pk_mov_b32 v[10:11], v[4:5], v[4:5] op_sel:[0,1]
	v_mul_f64 v[4:5], v[10:11], v[2:3]
	v_mul_f64 v[4:5], v[168:169], v[4:5]
	s_waitcnt vmcnt(8)
	v_mul_f64 v[6:7], v[188:189], v[4:5]
	v_mul_f64 v[6:7], v[184:185], v[6:7]
	v_fmac_f64_e32 v[22:23], v[6:7], v[8:9]
	v_mul_f64 v[6:7], v[180:181], v[4:5]
	v_accvgpr_read_b32 v8, a138
	v_mul_f64 v[6:7], v[176:177], v[6:7]
	v_accvgpr_read_b32 v9, a139
	v_fmac_f64_e32 v[22:23], v[6:7], v[8:9]
	v_mul_f64 v[6:7], v[172:173], v[4:5]
	v_mul_f64 v[6:7], v[168:169], v[6:7]
	s_waitcnt vmcnt(6)
	v_fmac_f64_e32 v[22:23], v[6:7], v[24:25]
	buffer_load_dword v24, off, s[20:23], 0 offset:1336 ; 4-byte Folded Reload
	buffer_load_dword v25, off, s[20:23], 0 offset:1340 ; 4-byte Folded Reload
	;; [unrolled: 1-line block ×4, first 2 shown]
	v_mul_f64 v[6:7], v[0:1], v[4:5]
	v_accvgpr_read_b32 v8, a142
	v_mul_f64 v[6:7], v[164:165], v[6:7]
	v_accvgpr_read_b32 v9, a143
	v_fmac_f64_e32 v[22:23], v[6:7], v[8:9]
	v_mul_f64 v[4:5], v[16:17], v[4:5]
	v_accvgpr_read_b32 v6, a146
	v_mul_f64 v[4:5], v[18:19], v[4:5]
	v_accvgpr_read_b32 v7, a147
	v_fmac_f64_e32 v[22:23], v[4:5], v[6:7]
	s_waitcnt vmcnt(6)
	v_mul_f64 v[4:5], v[28:29], v[2:3]
	v_mul_f64 v[4:5], v[164:165], v[4:5]
	;; [unrolled: 1-line block ×4, first 2 shown]
	v_accvgpr_read_b32 v8, a150
	v_accvgpr_read_b32 v9, a151
	s_waitcnt lgkmcnt(0)
	v_mul_f64 v[2:3], v[20:21], v[2:3]
	v_mul_f64 v[2:3], v[18:19], v[2:3]
	s_waitcnt vmcnt(2)
	v_fmac_f64_e32 v[22:23], v[6:7], v[24:25]
	buffer_load_dword v24, off, s[20:23], 0 offset:1352 ; 4-byte Folded Reload
	buffer_load_dword v25, off, s[20:23], 0 offset:1356 ; 4-byte Folded Reload
	;; [unrolled: 1-line block ×4, first 2 shown]
	v_mul_f64 v[6:7], v[180:181], v[4:5]
	v_mul_f64 v[6:7], v[176:177], v[6:7]
	s_waitcnt vmcnt(2)
	v_fmac_f64_e32 v[22:23], v[6:7], v[24:25]
	buffer_load_dword v24, off, s[20:23], 0 offset:1368 ; 4-byte Folded Reload
	buffer_load_dword v25, off, s[20:23], 0 offset:1372 ; 4-byte Folded Reload
	;; [unrolled: 1-line block ×4, first 2 shown]
	v_mul_f64 v[6:7], v[172:173], v[4:5]
	v_mul_f64 v[6:7], v[168:169], v[6:7]
	v_fmac_f64_e32 v[22:23], v[6:7], v[8:9]
	v_mul_f64 v[6:7], v[0:1], v[4:5]
	v_mul_f64 v[6:7], v[164:165], v[6:7]
	;; [unrolled: 1-line block ×4, first 2 shown]
	s_waitcnt vmcnt(2)
	v_fmac_f64_e32 v[22:23], v[6:7], v[24:25]
	buffer_load_dword v6, off, s[20:23], 0 offset:1384 ; 4-byte Folded Reload
	buffer_load_dword v7, off, s[20:23], 0 offset:1388 ; 4-byte Folded Reload
	;; [unrolled: 1-line block ×4, first 2 shown]
	s_waitcnt vmcnt(2)
	v_fmac_f64_e32 v[22:23], v[4:5], v[6:7]
	v_mul_f64 v[4:5], v[188:189], v[2:3]
	v_accvgpr_read_b32 v6, a154
	v_mul_f64 v[4:5], v[184:185], v[4:5]
	v_accvgpr_read_b32 v7, a155
	v_fmac_f64_e32 v[22:23], v[4:5], v[6:7]
	v_mul_f64 v[4:5], v[180:181], v[2:3]
	v_accvgpr_read_b32 v6, a158
	v_mul_f64 v[4:5], v[176:177], v[4:5]
	v_accvgpr_read_b32 v7, a159
	v_fmac_f64_e32 v[22:23], v[4:5], v[6:7]
	buffer_load_dword v6, off, s[20:23], 0 offset:1400 ; 4-byte Folded Reload
	buffer_load_dword v7, off, s[20:23], 0 offset:1404 ; 4-byte Folded Reload
	;; [unrolled: 1-line block ×4, first 2 shown]
	v_mul_f64 v[4:5], v[172:173], v[2:3]
	v_mul_f64 v[4:5], v[168:169], v[4:5]
	s_waitcnt vmcnt(2)
	v_fmac_f64_e32 v[22:23], v[4:5], v[6:7]
	buffer_load_dword v6, off, s[20:23], 0 offset:1432 ; 4-byte Folded Reload
	buffer_load_dword v7, off, s[20:23], 0 offset:1436 ; 4-byte Folded Reload
	;; [unrolled: 1-line block ×4, first 2 shown]
	v_mul_f64 v[4:5], v[0:1], v[2:3]
	v_mul_f64 v[4:5], v[164:165], v[4:5]
	;; [unrolled: 1-line block ×4, first 2 shown]
	s_waitcnt vmcnt(2)
	v_fmac_f64_e32 v[22:23], v[4:5], v[6:7]
	buffer_load_dword v6, off, s[20:23], 0 offset:64 ; 4-byte Folded Reload
	buffer_load_dword v7, off, s[20:23], 0 offset:68 ; 4-byte Folded Reload
	;; [unrolled: 1-line block ×8, first 2 shown]
	v_accvgpr_read_b32 v4, a162
	v_accvgpr_read_b32 v5, a163
	v_fmac_f64_e32 v[22:23], v[2:3], v[4:5]
	v_accvgpr_read_b32 v4, a110
	v_accvgpr_read_b32 v5, a111
	s_waitcnt vmcnt(4)
	v_accvgpr_read_b32 v8, a118
	v_accvgpr_read_b32 v9, a119
	v_mul_f64 v[2:3], v[4:5], v[6:7]
	v_mul_f64 v[4:5], v[12:13], v[2:3]
	;; [unrolled: 1-line block ×5, first 2 shown]
	s_waitcnt vmcnt(2)
	v_fmac_f64_e32 v[22:23], v[24:25], v[6:7]
	buffer_load_dword v24, off, s[20:23], 0 offset:1144 ; 4-byte Folded Reload
	buffer_load_dword v25, off, s[20:23], 0 offset:1148 ; 4-byte Folded Reload
	buffer_load_dword v26, off, s[20:23], 0 offset:1152 ; 4-byte Folded Reload
	buffer_load_dword v27, off, s[20:23], 0 offset:1156 ; 4-byte Folded Reload
	v_mul_f64 v[6:7], v[180:181], v[4:5]
	v_mul_f64 v[6:7], v[176:177], v[6:7]
	s_waitcnt vmcnt(2)
	v_fmac_f64_e32 v[22:23], v[24:25], v[6:7]
	buffer_load_dword v24, off, s[20:23], 0 offset:1192 ; 4-byte Folded Reload
	buffer_load_dword v25, off, s[20:23], 0 offset:1196 ; 4-byte Folded Reload
	buffer_load_dword v26, off, s[20:23], 0 offset:1200 ; 4-byte Folded Reload
	buffer_load_dword v27, off, s[20:23], 0 offset:1204 ; 4-byte Folded Reload
	v_mul_f64 v[6:7], v[172:173], v[4:5]
	v_mul_f64 v[6:7], v[168:169], v[6:7]
	;; [unrolled: 8-line block ×3, first 2 shown]
	v_fmac_f64_e32 v[22:23], v[8:9], v[6:7]
	v_mul_f64 v[4:5], v[16:17], v[4:5]
	v_accvgpr_read_b32 v6, a122
	v_mul_f64 v[4:5], v[18:19], v[4:5]
	v_accvgpr_read_b32 v7, a123
	v_fmac_f64_e32 v[22:23], v[4:5], v[6:7]
	v_mul_f64 v[4:5], v[208:209], v[2:3]
	v_mul_f64 v[4:5], v[176:177], v[4:5]
	;; [unrolled: 1-line block ×4, first 2 shown]
	v_accvgpr_read_b32 v8, a90
	v_accvgpr_read_b32 v9, a91
	s_waitcnt vmcnt(2)
	v_fmac_f64_e32 v[22:23], v[6:7], v[24:25]
	buffer_load_dword v24, off, s[20:23], 0 offset:1224 ; 4-byte Folded Reload
	buffer_load_dword v25, off, s[20:23], 0 offset:1228 ; 4-byte Folded Reload
	buffer_load_dword v26, off, s[20:23], 0 offset:1232 ; 4-byte Folded Reload
	buffer_load_dword v27, off, s[20:23], 0 offset:1236 ; 4-byte Folded Reload
	v_mul_f64 v[6:7], v[180:181], v[4:5]
	v_mul_f64 v[6:7], v[176:177], v[6:7]
	s_waitcnt vmcnt(2)
	v_fmac_f64_e32 v[22:23], v[6:7], v[24:25]
	buffer_load_dword v24, off, s[20:23], 0 offset:904 ; 4-byte Folded Reload
	buffer_load_dword v25, off, s[20:23], 0 offset:908 ; 4-byte Folded Reload
	buffer_load_dword v26, off, s[20:23], 0 offset:912 ; 4-byte Folded Reload
	buffer_load_dword v27, off, s[20:23], 0 offset:916 ; 4-byte Folded Reload
	v_mul_f64 v[6:7], v[172:173], v[4:5]
	v_mul_f64 v[6:7], v[168:169], v[6:7]
	;; [unrolled: 8-line block ×3, first 2 shown]
	v_mul_f64 v[4:5], v[16:17], v[4:5]
	v_mul_f64 v[4:5], v[18:19], v[4:5]
	s_waitcnt vmcnt(2)
	v_fmac_f64_e32 v[22:23], v[6:7], v[24:25]
	buffer_load_dword v24, off, s[20:23], 0 offset:936 ; 4-byte Folded Reload
	buffer_load_dword v25, off, s[20:23], 0 offset:940 ; 4-byte Folded Reload
	;; [unrolled: 1-line block ×4, first 2 shown]
	v_accvgpr_read_b32 v6, a94
	v_accvgpr_read_b32 v7, a95
	v_fmac_f64_e32 v[22:23], v[4:5], v[6:7]
	v_mul_f64 v[4:5], v[10:11], v[2:3]
	v_mul_f64 v[4:5], v[168:169], v[4:5]
	;; [unrolled: 1-line block ×4, first 2 shown]
	v_fmac_f64_e32 v[22:23], v[6:7], v[8:9]
	v_mul_f64 v[6:7], v[180:181], v[4:5]
	v_accvgpr_read_b32 v8, a86
	v_mul_f64 v[6:7], v[176:177], v[6:7]
	v_accvgpr_read_b32 v9, a87
	v_fmac_f64_e32 v[22:23], v[6:7], v[8:9]
	v_mul_f64 v[6:7], v[172:173], v[4:5]
	v_mul_f64 v[6:7], v[168:169], v[6:7]
	s_waitcnt vmcnt(2)
	v_fmac_f64_e32 v[22:23], v[6:7], v[24:25]
	buffer_load_dword v24, off, s[20:23], 0 offset:1320 ; 4-byte Folded Reload
	buffer_load_dword v25, off, s[20:23], 0 offset:1324 ; 4-byte Folded Reload
	;; [unrolled: 1-line block ×4, first 2 shown]
	v_mul_f64 v[6:7], v[0:1], v[4:5]
	v_mul_f64 v[6:7], v[164:165], v[6:7]
	;; [unrolled: 1-line block ×4, first 2 shown]
	s_waitcnt vmcnt(2)
	v_fmac_f64_e32 v[22:23], v[6:7], v[24:25]
	buffer_load_dword v6, off, s[20:23], 0 offset:968 ; 4-byte Folded Reload
	buffer_load_dword v7, off, s[20:23], 0 offset:972 ; 4-byte Folded Reload
	;; [unrolled: 1-line block ×8, first 2 shown]
	s_waitcnt vmcnt(4)
	v_accvgpr_read_b32 v8, a46
	v_accvgpr_read_b32 v9, a47
	v_fmac_f64_e32 v[22:23], v[4:5], v[6:7]
	v_mul_f64 v[4:5], v[28:29], v[2:3]
	v_mul_f64 v[4:5], v[164:165], v[4:5]
	;; [unrolled: 1-line block ×4, first 2 shown]
	s_waitcnt vmcnt(2)
	v_fmac_f64_e32 v[22:23], v[6:7], v[24:25]
	buffer_load_dword v24, off, s[20:23], 0 offset:984 ; 4-byte Folded Reload
	buffer_load_dword v25, off, s[20:23], 0 offset:988 ; 4-byte Folded Reload
	;; [unrolled: 1-line block ×4, first 2 shown]
	v_mul_f64 v[6:7], v[180:181], v[4:5]
	v_mul_f64 v[6:7], v[176:177], v[6:7]
	v_fmac_f64_e32 v[22:23], v[6:7], v[8:9]
	v_mul_f64 v[6:7], v[172:173], v[4:5]
	v_mul_f64 v[6:7], v[168:169], v[6:7]
	v_accvgpr_read_b32 v8, a98
	v_accvgpr_read_b32 v9, a99
	v_mul_f64 v[2:3], v[20:21], v[2:3]
	v_mul_f64 v[2:3], v[18:19], v[2:3]
	s_waitcnt vmcnt(2)
	v_fmac_f64_e32 v[22:23], v[6:7], v[24:25]
	v_mul_f64 v[6:7], v[0:1], v[4:5]
	v_mul_f64 v[6:7], v[164:165], v[6:7]
	v_fmac_f64_e32 v[22:23], v[6:7], v[8:9]
	v_mul_f64 v[4:5], v[16:17], v[4:5]
	v_accvgpr_read_b32 v6, a102
	v_mul_f64 v[4:5], v[18:19], v[4:5]
	v_accvgpr_read_b32 v7, a103
	v_fmac_f64_e32 v[22:23], v[4:5], v[6:7]
	buffer_load_dword v6, off, s[20:23], 0 offset:1000 ; 4-byte Folded Reload
	buffer_load_dword v7, off, s[20:23], 0 offset:1004 ; 4-byte Folded Reload
	buffer_load_dword v8, off, s[20:23], 0 offset:1008 ; 4-byte Folded Reload
	buffer_load_dword v9, off, s[20:23], 0 offset:1012 ; 4-byte Folded Reload
	v_mul_f64 v[4:5], v[188:189], v[2:3]
	v_mul_f64 v[4:5], v[184:185], v[4:5]
	s_waitcnt vmcnt(2)
	v_fmac_f64_e32 v[22:23], v[4:5], v[6:7]
	buffer_load_dword v6, off, s[20:23], 0 offset:1032 ; 4-byte Folded Reload
	buffer_load_dword v7, off, s[20:23], 0 offset:1036 ; 4-byte Folded Reload
	buffer_load_dword v8, off, s[20:23], 0 offset:1040 ; 4-byte Folded Reload
	buffer_load_dword v9, off, s[20:23], 0 offset:1044 ; 4-byte Folded Reload
	v_mul_f64 v[4:5], v[180:181], v[2:3]
	v_mul_f64 v[4:5], v[176:177], v[4:5]
	s_waitcnt vmcnt(2)
	;; [unrolled: 8-line block ×3, first 2 shown]
	v_fmac_f64_e32 v[22:23], v[4:5], v[6:7]
	buffer_load_dword v6, off, s[20:23], 0 offset:1064 ; 4-byte Folded Reload
	buffer_load_dword v7, off, s[20:23], 0 offset:1068 ; 4-byte Folded Reload
	;; [unrolled: 1-line block ×8, first 2 shown]
	v_mul_f64 v[4:5], v[0:1], v[2:3]
	v_mul_f64 v[4:5], v[164:165], v[4:5]
	;; [unrolled: 1-line block ×4, first 2 shown]
	s_waitcnt vmcnt(6)
	v_fmac_f64_e32 v[22:23], v[4:5], v[6:7]
	v_accvgpr_read_b32 v4, a106
	v_accvgpr_read_b32 v5, a107
	v_fmac_f64_e32 v[22:23], v[2:3], v[4:5]
	v_accvgpr_read_b32 v2, a82
	v_accvgpr_read_b32 v4, a174
	;; [unrolled: 1-line block ×4, first 2 shown]
	v_mul_f64 v[2:3], v[2:3], v[4:5]
	v_mul_f64 v[4:5], v[12:13], v[2:3]
	v_mul_f64 v[4:5], v[184:185], v[4:5]
	v_mul_f64 v[6:7], v[188:189], v[4:5]
	v_mul_f64 v[6:7], v[184:185], v[6:7]
	s_waitcnt vmcnt(2)
	v_fmac_f64_e32 v[22:23], v[24:25], v[6:7]
	buffer_load_dword v24, off, s[20:23], 0 offset:1544 ; 4-byte Folded Reload
	buffer_load_dword v25, off, s[20:23], 0 offset:1548 ; 4-byte Folded Reload
	buffer_load_dword v26, off, s[20:23], 0 offset:1552 ; 4-byte Folded Reload
	buffer_load_dword v27, off, s[20:23], 0 offset:1556 ; 4-byte Folded Reload
	v_mul_f64 v[6:7], v[180:181], v[4:5]
	v_mul_f64 v[6:7], v[176:177], v[6:7]
	s_waitcnt vmcnt(2)
	v_fmac_f64_e32 v[22:23], v[24:25], v[6:7]
	buffer_load_dword v24, off, s[20:23], 0 offset:696 ; 4-byte Folded Reload
	buffer_load_dword v25, off, s[20:23], 0 offset:700 ; 4-byte Folded Reload
	buffer_load_dword v26, off, s[20:23], 0 offset:704 ; 4-byte Folded Reload
	buffer_load_dword v27, off, s[20:23], 0 offset:708 ; 4-byte Folded Reload
	v_mul_f64 v[6:7], v[172:173], v[4:5]
	v_mul_f64 v[6:7], v[168:169], v[6:7]
	;; [unrolled: 8-line block ×3, first 2 shown]
	v_mul_f64 v[4:5], v[16:17], v[4:5]
	v_mul_f64 v[4:5], v[18:19], v[4:5]
	s_waitcnt vmcnt(2)
	v_fmac_f64_e32 v[22:23], v[24:25], v[6:7]
	buffer_load_dword v6, off, s[20:23], 0 offset:1160 ; 4-byte Folded Reload
	buffer_load_dword v7, off, s[20:23], 0 offset:1164 ; 4-byte Folded Reload
	;; [unrolled: 1-line block ×8, first 2 shown]
	s_waitcnt vmcnt(6)
	v_fmac_f64_e32 v[22:23], v[4:5], v[6:7]
	v_mul_f64 v[4:5], v[208:209], v[2:3]
	v_mul_f64 v[4:5], v[176:177], v[4:5]
	;; [unrolled: 1-line block ×4, first 2 shown]
	s_waitcnt vmcnt(2)
	v_fmac_f64_e32 v[22:23], v[6:7], v[24:25]
	buffer_load_dword v24, off, s[20:23], 0 offset:728 ; 4-byte Folded Reload
	buffer_load_dword v25, off, s[20:23], 0 offset:732 ; 4-byte Folded Reload
	buffer_load_dword v26, off, s[20:23], 0 offset:736 ; 4-byte Folded Reload
	buffer_load_dword v27, off, s[20:23], 0 offset:740 ; 4-byte Folded Reload
	v_mul_f64 v[6:7], v[180:181], v[4:5]
	v_mul_f64 v[6:7], v[176:177], v[6:7]
	s_waitcnt vmcnt(2)
	v_fmac_f64_e32 v[22:23], v[6:7], v[24:25]
	buffer_load_dword v24, off, s[20:23], 0 offset:824 ; 4-byte Folded Reload
	buffer_load_dword v25, off, s[20:23], 0 offset:828 ; 4-byte Folded Reload
	buffer_load_dword v26, off, s[20:23], 0 offset:832 ; 4-byte Folded Reload
	buffer_load_dword v27, off, s[20:23], 0 offset:836 ; 4-byte Folded Reload
	v_mul_f64 v[6:7], v[172:173], v[4:5]
	v_mul_f64 v[6:7], v[168:169], v[6:7]
	s_waitcnt vmcnt(2)
	v_fmac_f64_e32 v[22:23], v[6:7], v[24:25]
	buffer_load_dword v24, off, s[20:23], 0 offset:744 ; 4-byte Folded Reload
	buffer_load_dword v25, off, s[20:23], 0 offset:748 ; 4-byte Folded Reload
	buffer_load_dword v26, off, s[20:23], 0 offset:752 ; 4-byte Folded Reload
	buffer_load_dword v27, off, s[20:23], 0 offset:756 ; 4-byte Folded Reload
	v_mul_f64 v[6:7], v[0:1], v[4:5]
	v_mul_f64 v[6:7], v[164:165], v[6:7]
	v_mul_f64 v[4:5], v[16:17], v[4:5]
	v_mul_f64 v[4:5], v[18:19], v[4:5]
	s_waitcnt vmcnt(2)
	v_fmac_f64_e32 v[22:23], v[6:7], v[24:25]
	buffer_load_dword v6, off, s[20:23], 0 offset:760 ; 4-byte Folded Reload
	buffer_load_dword v7, off, s[20:23], 0 offset:764 ; 4-byte Folded Reload
	;; [unrolled: 1-line block ×8, first 2 shown]
	s_waitcnt vmcnt(4)
	v_accvgpr_read_b32 v8, a58
	v_accvgpr_read_b32 v9, a59
	v_fmac_f64_e32 v[22:23], v[4:5], v[6:7]
	v_mul_f64 v[4:5], v[10:11], v[2:3]
	v_mul_f64 v[4:5], v[168:169], v[4:5]
	;; [unrolled: 1-line block ×4, first 2 shown]
	s_waitcnt vmcnt(2)
	v_fmac_f64_e32 v[22:23], v[6:7], v[24:25]
	buffer_load_dword v24, off, s[20:23], 0 offset:792 ; 4-byte Folded Reload
	buffer_load_dword v25, off, s[20:23], 0 offset:796 ; 4-byte Folded Reload
	;; [unrolled: 1-line block ×4, first 2 shown]
	v_mul_f64 v[6:7], v[180:181], v[4:5]
	v_mul_f64 v[6:7], v[176:177], v[6:7]
	v_fmac_f64_e32 v[22:23], v[6:7], v[8:9]
	v_mul_f64 v[6:7], v[172:173], v[4:5]
	v_mul_f64 v[6:7], v[168:169], v[6:7]
	v_accvgpr_read_b32 v8, a62
	v_accvgpr_read_b32 v9, a63
	s_waitcnt vmcnt(2)
	v_fmac_f64_e32 v[22:23], v[6:7], v[24:25]
	buffer_load_dword v24, off, s[20:23], 0 offset:808 ; 4-byte Folded Reload
	buffer_load_dword v25, off, s[20:23], 0 offset:812 ; 4-byte Folded Reload
	;; [unrolled: 1-line block ×4, first 2 shown]
	v_mul_f64 v[6:7], v[0:1], v[4:5]
	v_mul_f64 v[6:7], v[164:165], v[6:7]
	v_fmac_f64_e32 v[22:23], v[6:7], v[8:9]
	v_mul_f64 v[4:5], v[16:17], v[4:5]
	v_accvgpr_read_b32 v6, a54
	v_mul_f64 v[4:5], v[18:19], v[4:5]
	v_accvgpr_read_b32 v7, a55
	v_fmac_f64_e32 v[22:23], v[4:5], v[6:7]
	v_mul_f64 v[4:5], v[28:29], v[2:3]
	v_mul_f64 v[4:5], v[164:165], v[4:5]
	;; [unrolled: 1-line block ×6, first 2 shown]
	s_waitcnt vmcnt(2)
	v_fmac_f64_e32 v[22:23], v[6:7], v[24:25]
	buffer_load_dword v24, off, s[20:23], 0 offset:840 ; 4-byte Folded Reload
	buffer_load_dword v25, off, s[20:23], 0 offset:844 ; 4-byte Folded Reload
	buffer_load_dword v26, off, s[20:23], 0 offset:848 ; 4-byte Folded Reload
	buffer_load_dword v27, off, s[20:23], 0 offset:852 ; 4-byte Folded Reload
	v_mul_f64 v[6:7], v[180:181], v[4:5]
	v_mul_f64 v[6:7], v[176:177], v[6:7]
	s_waitcnt vmcnt(2)
	v_fmac_f64_e32 v[22:23], v[6:7], v[24:25]
	buffer_load_dword v24, off, s[20:23], 0 offset:856 ; 4-byte Folded Reload
	buffer_load_dword v25, off, s[20:23], 0 offset:860 ; 4-byte Folded Reload
	buffer_load_dword v26, off, s[20:23], 0 offset:864 ; 4-byte Folded Reload
	buffer_load_dword v27, off, s[20:23], 0 offset:868 ; 4-byte Folded Reload
	v_mul_f64 v[6:7], v[172:173], v[4:5]
	v_mul_f64 v[6:7], v[168:169], v[6:7]
	;; [unrolled: 8-line block ×3, first 2 shown]
	v_mul_f64 v[4:5], v[16:17], v[4:5]
	v_mul_f64 v[4:5], v[18:19], v[4:5]
	s_waitcnt vmcnt(2)
	v_fmac_f64_e32 v[22:23], v[6:7], v[24:25]
	buffer_load_dword v6, off, s[20:23], 0 offset:888 ; 4-byte Folded Reload
	buffer_load_dword v7, off, s[20:23], 0 offset:892 ; 4-byte Folded Reload
	buffer_load_dword v8, off, s[20:23], 0 offset:896 ; 4-byte Folded Reload
	buffer_load_dword v9, off, s[20:23], 0 offset:900 ; 4-byte Folded Reload
	s_waitcnt vmcnt(2)
	v_fmac_f64_e32 v[22:23], v[4:5], v[6:7]
	v_mul_f64 v[4:5], v[188:189], v[2:3]
	v_accvgpr_read_b32 v6, a70
	v_mul_f64 v[4:5], v[184:185], v[4:5]
	v_accvgpr_read_b32 v7, a71
	v_fmac_f64_e32 v[22:23], v[4:5], v[6:7]
	v_mul_f64 v[4:5], v[180:181], v[2:3]
	v_accvgpr_read_b32 v6, a74
	v_mul_f64 v[4:5], v[176:177], v[4:5]
	v_accvgpr_read_b32 v7, a75
	v_fmac_f64_e32 v[22:23], v[4:5], v[6:7]
	buffer_load_dword v6, off, s[20:23], 0 offset:1592 ; 4-byte Folded Reload
	buffer_load_dword v7, off, s[20:23], 0 offset:1596 ; 4-byte Folded Reload
	;; [unrolled: 1-line block ×4, first 2 shown]
	v_mul_f64 v[4:5], v[172:173], v[2:3]
	v_mul_f64 v[4:5], v[168:169], v[4:5]
	s_waitcnt vmcnt(2)
	v_fmac_f64_e32 v[22:23], v[4:5], v[6:7]
	v_mul_f64 v[4:5], v[0:1], v[2:3]
	v_accvgpr_read_b32 v6, a78
	v_mul_f64 v[4:5], v[164:165], v[4:5]
	v_accvgpr_read_b32 v7, a79
	v_fmac_f64_e32 v[22:23], v[4:5], v[6:7]
	buffer_load_dword v4, off, s[20:23], 0 offset:1176 ; 4-byte Folded Reload
	buffer_load_dword v5, off, s[20:23], 0 offset:1180 ; 4-byte Folded Reload
	;; [unrolled: 1-line block ×8, first 2 shown]
	v_mul_f64 v[2:3], v[16:17], v[2:3]
	v_mul_f64 v[2:3], v[18:19], v[2:3]
	s_waitcnt vmcnt(6)
	v_fmac_f64_e32 v[22:23], v[2:3], v[4:5]
	v_accvgpr_read_b32 v4, a178
	v_accvgpr_read_b32 v5, a179
	s_waitcnt vmcnt(2)
	v_mul_f64 v[24:25], v[6:7], v[4:5]
	buffer_load_dword v6, off, s[20:23], 0 offset:512 ; 4-byte Folded Reload
	buffer_load_dword v7, off, s[20:23], 0 offset:516 ; 4-byte Folded Reload
	;; [unrolled: 1-line block ×4, first 2 shown]
	v_mul_f64 v[2:3], v[12:13], v[24:25]
	v_mul_f64 v[2:3], v[184:185], v[2:3]
	v_mul_f64 v[4:5], v[188:189], v[2:3]
	v_mul_f64 v[4:5], v[184:185], v[4:5]
	s_waitcnt vmcnt(2)
	v_fmac_f64_e32 v[22:23], v[6:7], v[4:5]
	buffer_load_dword v6, off, s[20:23], 0 offset:776 ; 4-byte Folded Reload
	buffer_load_dword v7, off, s[20:23], 0 offset:780 ; 4-byte Folded Reload
	buffer_load_dword v8, off, s[20:23], 0 offset:784 ; 4-byte Folded Reload
	buffer_load_dword v9, off, s[20:23], 0 offset:788 ; 4-byte Folded Reload
	v_mul_f64 v[4:5], v[180:181], v[2:3]
	v_mul_f64 v[4:5], v[176:177], v[4:5]
	s_waitcnt vmcnt(2)
	v_fmac_f64_e32 v[22:23], v[6:7], v[4:5]
	buffer_load_dword v6, off, s[20:23], 0 offset:496 ; 4-byte Folded Reload
	buffer_load_dword v7, off, s[20:23], 0 offset:500 ; 4-byte Folded Reload
	buffer_load_dword v8, off, s[20:23], 0 offset:504 ; 4-byte Folded Reload
	buffer_load_dword v9, off, s[20:23], 0 offset:508 ; 4-byte Folded Reload
	v_mul_f64 v[4:5], v[172:173], v[2:3]
	v_mul_f64 v[4:5], v[168:169], v[4:5]
	;; [unrolled: 8-line block ×3, first 2 shown]
	v_mul_f64 v[2:3], v[16:17], v[2:3]
	v_mul_f64 v[2:3], v[18:19], v[2:3]
	s_waitcnt vmcnt(2)
	v_fmac_f64_e32 v[22:23], v[6:7], v[4:5]
	buffer_load_dword v4, off, s[20:23], 0 offset:480 ; 4-byte Folded Reload
	buffer_load_dword v5, off, s[20:23], 0 offset:484 ; 4-byte Folded Reload
	;; [unrolled: 1-line block ×8, first 2 shown]
	s_waitcnt vmcnt(6)
	v_fmac_f64_e32 v[22:23], v[2:3], v[4:5]
	v_mul_f64 v[2:3], v[208:209], v[24:25]
	v_mul_f64 v[2:3], v[176:177], v[2:3]
	;; [unrolled: 1-line block ×4, first 2 shown]
	s_waitcnt vmcnt(2)
	v_fmac_f64_e32 v[22:23], v[4:5], v[6:7]
	buffer_load_dword v6, off, s[20:23], 0 offset:464 ; 4-byte Folded Reload
	buffer_load_dword v7, off, s[20:23], 0 offset:468 ; 4-byte Folded Reload
	buffer_load_dword v8, off, s[20:23], 0 offset:472 ; 4-byte Folded Reload
	buffer_load_dword v9, off, s[20:23], 0 offset:476 ; 4-byte Folded Reload
	v_mul_f64 v[4:5], v[180:181], v[2:3]
	v_mul_f64 v[4:5], v[176:177], v[4:5]
	s_waitcnt vmcnt(2)
	v_fmac_f64_e32 v[22:23], v[4:5], v[6:7]
	buffer_load_dword v6, off, s[20:23], 0 offset:1112 ; 4-byte Folded Reload
	buffer_load_dword v7, off, s[20:23], 0 offset:1116 ; 4-byte Folded Reload
	buffer_load_dword v8, off, s[20:23], 0 offset:1120 ; 4-byte Folded Reload
	buffer_load_dword v9, off, s[20:23], 0 offset:1124 ; 4-byte Folded Reload
	v_mul_f64 v[4:5], v[172:173], v[2:3]
	v_mul_f64 v[4:5], v[168:169], v[4:5]
	s_waitcnt vmcnt(2)
	v_fmac_f64_e32 v[22:23], v[4:5], v[6:7]
	buffer_load_dword v6, off, s[20:23], 0 offset:448 ; 4-byte Folded Reload
	buffer_load_dword v7, off, s[20:23], 0 offset:452 ; 4-byte Folded Reload
	buffer_load_dword v8, off, s[20:23], 0 offset:456 ; 4-byte Folded Reload
	buffer_load_dword v9, off, s[20:23], 0 offset:460 ; 4-byte Folded Reload
	v_mul_f64 v[4:5], v[0:1], v[2:3]
	v_mul_f64 v[4:5], v[164:165], v[4:5]
	v_mul_f64 v[2:3], v[16:17], v[2:3]
	v_mul_f64 v[2:3], v[18:19], v[2:3]
	s_waitcnt vmcnt(2)
	v_fmac_f64_e32 v[22:23], v[4:5], v[6:7]
	buffer_load_dword v4, off, s[20:23], 0 offset:1416 ; 4-byte Folded Reload
	buffer_load_dword v5, off, s[20:23], 0 offset:1420 ; 4-byte Folded Reload
	;; [unrolled: 1-line block ×8, first 2 shown]
	s_waitcnt vmcnt(6)
	v_fmac_f64_e32 v[22:23], v[2:3], v[4:5]
	v_mul_f64 v[2:3], v[10:11], v[24:25]
	v_mul_f64 v[2:3], v[168:169], v[2:3]
	;; [unrolled: 1-line block ×4, first 2 shown]
	s_waitcnt vmcnt(2)
	v_fmac_f64_e32 v[22:23], v[4:5], v[6:7]
	v_mul_f64 v[4:5], v[180:181], v[2:3]
	v_accvgpr_read_b32 v6, a236
	v_mul_f64 v[4:5], v[176:177], v[4:5]
	v_accvgpr_read_b32 v7, a237
	v_fmac_f64_e32 v[22:23], v[4:5], v[6:7]
	buffer_load_dword v6, off, s[20:23], 0 offset:416 ; 4-byte Folded Reload
	buffer_load_dword v7, off, s[20:23], 0 offset:420 ; 4-byte Folded Reload
	;; [unrolled: 1-line block ×4, first 2 shown]
	v_mul_f64 v[4:5], v[172:173], v[2:3]
	v_mul_f64 v[4:5], v[168:169], v[4:5]
	s_waitcnt vmcnt(2)
	v_fmac_f64_e32 v[22:23], v[4:5], v[6:7]
	buffer_load_dword v6, off, s[20:23], 0 offset:400 ; 4-byte Folded Reload
	buffer_load_dword v7, off, s[20:23], 0 offset:404 ; 4-byte Folded Reload
	;; [unrolled: 1-line block ×4, first 2 shown]
	v_mul_f64 v[4:5], v[0:1], v[2:3]
	v_mul_f64 v[4:5], v[164:165], v[4:5]
	;; [unrolled: 1-line block ×4, first 2 shown]
	s_waitcnt vmcnt(2)
	v_fmac_f64_e32 v[22:23], v[4:5], v[6:7]
	buffer_load_dword v4, off, s[20:23], 0 offset:384 ; 4-byte Folded Reload
	buffer_load_dword v5, off, s[20:23], 0 offset:388 ; 4-byte Folded Reload
	;; [unrolled: 1-line block ×8, first 2 shown]
	s_waitcnt vmcnt(6)
	v_fmac_f64_e32 v[22:23], v[2:3], v[4:5]
	v_mul_f64 v[2:3], v[28:29], v[24:25]
	v_mul_f64 v[2:3], v[164:165], v[2:3]
	;; [unrolled: 1-line block ×4, first 2 shown]
	s_waitcnt vmcnt(2)
	v_fmac_f64_e32 v[22:23], v[4:5], v[6:7]
	v_mul_f64 v[4:5], v[180:181], v[2:3]
	v_accvgpr_read_b32 v6, a224
	v_mul_f64 v[4:5], v[176:177], v[4:5]
	v_accvgpr_read_b32 v7, a225
	v_fmac_f64_e32 v[22:23], v[4:5], v[6:7]
	buffer_load_dword v6, off, s[20:23], 0 offset:352 ; 4-byte Folded Reload
	buffer_load_dword v7, off, s[20:23], 0 offset:356 ; 4-byte Folded Reload
	;; [unrolled: 1-line block ×4, first 2 shown]
	v_mul_f64 v[4:5], v[172:173], v[2:3]
	v_mul_f64 v[4:5], v[168:169], v[4:5]
	s_waitcnt vmcnt(2)
	v_fmac_f64_e32 v[22:23], v[4:5], v[6:7]
	buffer_load_dword v6, off, s[20:23], 0 offset:336 ; 4-byte Folded Reload
	buffer_load_dword v7, off, s[20:23], 0 offset:340 ; 4-byte Folded Reload
	;; [unrolled: 1-line block ×4, first 2 shown]
	v_mul_f64 v[4:5], v[0:1], v[2:3]
	v_mul_f64 v[4:5], v[164:165], v[4:5]
	v_mul_f64 v[2:3], v[16:17], v[2:3]
	v_mul_f64 v[2:3], v[18:19], v[2:3]
	s_waitcnt vmcnt(2)
	v_fmac_f64_e32 v[22:23], v[4:5], v[6:7]
	buffer_load_dword v4, off, s[20:23], 0 offset:320 ; 4-byte Folded Reload
	buffer_load_dword v5, off, s[20:23], 0 offset:324 ; 4-byte Folded Reload
	;; [unrolled: 1-line block ×4, first 2 shown]
	s_waitcnt vmcnt(0)
	v_accvgpr_read_b32 v6, a220
	v_accvgpr_read_b32 v7, a221
	v_fmac_f64_e32 v[22:23], v[2:3], v[4:5]
	v_mul_f64 v[2:3], v[20:21], v[24:25]
	v_mul_f64 v[2:3], v[18:19], v[2:3]
	v_mul_f64 v[4:5], v[188:189], v[2:3]
	v_mul_f64 v[4:5], v[184:185], v[4:5]
	v_fmac_f64_e32 v[22:23], v[4:5], v[6:7]
	buffer_load_dword v6, off, s[20:23], 0 offset:304 ; 4-byte Folded Reload
	buffer_load_dword v7, off, s[20:23], 0 offset:308 ; 4-byte Folded Reload
	;; [unrolled: 1-line block ×4, first 2 shown]
	v_mul_f64 v[4:5], v[180:181], v[2:3]
	v_mul_f64 v[4:5], v[176:177], v[4:5]
	s_waitcnt vmcnt(2)
	v_fmac_f64_e32 v[22:23], v[4:5], v[6:7]
	v_mul_f64 v[4:5], v[172:173], v[2:3]
	v_accvgpr_read_b32 v6, a214
	v_mul_f64 v[4:5], v[168:169], v[4:5]
	v_accvgpr_read_b32 v7, a215
	v_fmac_f64_e32 v[22:23], v[4:5], v[6:7]
	buffer_load_dword v6, off, s[20:23], 0 offset:288 ; 4-byte Folded Reload
	buffer_load_dword v7, off, s[20:23], 0 offset:292 ; 4-byte Folded Reload
	;; [unrolled: 1-line block ×4, first 2 shown]
	v_mul_f64 v[4:5], v[0:1], v[2:3]
	v_mul_f64 v[4:5], v[164:165], v[4:5]
	;; [unrolled: 1-line block ×4, first 2 shown]
	s_waitcnt vmcnt(0)
	v_accvgpr_read_b32 v8, a206
	v_accvgpr_read_b32 v9, a207
	v_fmac_f64_e32 v[22:23], v[4:5], v[6:7]
	v_accvgpr_read_b32 v4, a210
	v_accvgpr_read_b32 v5, a211
	v_fmac_f64_e32 v[22:23], v[2:3], v[4:5]
	ds_read_b64 v[2:3], v126 offset:128
	ds_read_b64 v[4:5], v255 offset:128
	s_waitcnt lgkmcnt(0)
	v_mul_f64 v[2:3], v[2:3], v[4:5]
	v_mul_f64 v[4:5], v[12:13], v[2:3]
	buffer_load_dword v12, off, s[20:23], 0 offset:272 ; 4-byte Folded Reload
	buffer_load_dword v13, off, s[20:23], 0 offset:276 ; 4-byte Folded Reload
	;; [unrolled: 1-line block ×4, first 2 shown]
	v_mul_f64 v[4:5], v[184:185], v[4:5]
	v_mul_f64 v[6:7], v[188:189], v[4:5]
	;; [unrolled: 1-line block ×3, first 2 shown]
	s_waitcnt vmcnt(2)
	v_fmac_f64_e32 v[22:23], v[12:13], v[6:7]
	buffer_load_dword v12, off, s[20:23], 0 offset:256 ; 4-byte Folded Reload
	buffer_load_dword v13, off, s[20:23], 0 offset:260 ; 4-byte Folded Reload
	;; [unrolled: 1-line block ×4, first 2 shown]
	v_mul_f64 v[6:7], v[180:181], v[4:5]
	v_mul_f64 v[6:7], v[176:177], v[6:7]
	v_fmac_f64_e32 v[22:23], v[8:9], v[6:7]
	v_mul_f64 v[6:7], v[172:173], v[4:5]
	v_mul_f64 v[6:7], v[168:169], v[6:7]
	v_accvgpr_read_b32 v8, a202
	v_accvgpr_read_b32 v9, a203
	s_waitcnt vmcnt(2)
	v_fmac_f64_e32 v[22:23], v[12:13], v[6:7]
	v_mul_f64 v[6:7], v[0:1], v[4:5]
	v_mul_f64 v[6:7], v[164:165], v[6:7]
	v_fmac_f64_e32 v[22:23], v[8:9], v[6:7]
	buffer_load_dword v6, off, s[20:23], 0 offset:240 ; 4-byte Folded Reload
	buffer_load_dword v7, off, s[20:23], 0 offset:244 ; 4-byte Folded Reload
	;; [unrolled: 1-line block ×8, first 2 shown]
	v_mul_f64 v[4:5], v[16:17], v[4:5]
	v_mul_f64 v[4:5], v[18:19], v[4:5]
	s_waitcnt vmcnt(4)
	v_accvgpr_read_b32 v8, a198
	v_accvgpr_read_b32 v9, a199
	v_fmac_f64_e32 v[22:23], v[4:5], v[6:7]
	v_mul_f64 v[4:5], v[208:209], v[2:3]
	v_mul_f64 v[4:5], v[176:177], v[4:5]
	;; [unrolled: 1-line block ×4, first 2 shown]
	v_fmac_f64_e32 v[22:23], v[6:7], v[8:9]
	v_mul_f64 v[6:7], v[180:181], v[4:5]
	v_mul_f64 v[6:7], v[176:177], v[6:7]
	s_waitcnt vmcnt(2)
	v_fmac_f64_e32 v[22:23], v[6:7], v[12:13]
	buffer_load_dword v12, off, s[20:23], 0 offset:208 ; 4-byte Folded Reload
	buffer_load_dword v13, off, s[20:23], 0 offset:212 ; 4-byte Folded Reload
	;; [unrolled: 1-line block ×4, first 2 shown]
	v_mul_f64 v[6:7], v[172:173], v[4:5]
	v_accvgpr_read_b32 v8, a194
	v_mul_f64 v[6:7], v[168:169], v[6:7]
	v_accvgpr_read_b32 v9, a195
	v_fmac_f64_e32 v[22:23], v[6:7], v[8:9]
	v_mul_f64 v[6:7], v[0:1], v[4:5]
	v_mul_f64 v[6:7], v[164:165], v[6:7]
	;; [unrolled: 1-line block ×4, first 2 shown]
	s_waitcnt vmcnt(2)
	v_fmac_f64_e32 v[22:23], v[6:7], v[12:13]
	v_accvgpr_read_b32 v6, a190
	v_accvgpr_read_b32 v7, a191
	v_fmac_f64_e32 v[22:23], v[4:5], v[6:7]
	v_mul_f64 v[4:5], v[10:11], v[2:3]
	buffer_load_dword v8, off, s[20:23], 0 offset:192 ; 4-byte Folded Reload
	buffer_load_dword v9, off, s[20:23], 0 offset:196 ; 4-byte Folded Reload
	;; [unrolled: 1-line block ×4, first 2 shown]
	v_mul_f64 v[4:5], v[168:169], v[4:5]
	v_mul_f64 v[6:7], v[188:189], v[4:5]
	;; [unrolled: 1-line block ×3, first 2 shown]
	s_waitcnt vmcnt(2)
	v_fmac_f64_e32 v[22:23], v[6:7], v[8:9]
	v_mul_f64 v[6:7], v[180:181], v[4:5]
	v_accvgpr_read_b32 v8, a186
	v_mul_f64 v[6:7], v[176:177], v[6:7]
	v_accvgpr_read_b32 v9, a187
	v_fmac_f64_e32 v[22:23], v[6:7], v[8:9]
	v_mul_f64 v[6:7], v[172:173], v[4:5]
	v_accvgpr_read_b32 v8, a166
	v_mul_f64 v[6:7], v[168:169], v[6:7]
	v_accvgpr_read_b32 v9, a167
	;; [unrolled: 5-line block ×3, first 2 shown]
	v_fmac_f64_e32 v[22:23], v[6:7], v[8:9]
	buffer_load_dword v6, off, s[20:23], 0 offset:176 ; 4-byte Folded Reload
	buffer_load_dword v7, off, s[20:23], 0 offset:180 ; 4-byte Folded Reload
	;; [unrolled: 1-line block ×8, first 2 shown]
	v_mul_f64 v[4:5], v[16:17], v[4:5]
	v_mul_f64 v[4:5], v[18:19], v[4:5]
	s_waitcnt vmcnt(6)
	v_fmac_f64_e32 v[22:23], v[4:5], v[6:7]
	v_mul_f64 v[4:5], v[28:29], v[2:3]
	v_mul_f64 v[4:5], v[164:165], v[4:5]
	v_mul_f64 v[6:7], v[188:189], v[4:5]
	v_mul_f64 v[6:7], v[184:185], v[6:7]
	s_waitcnt vmcnt(2)
	v_fmac_f64_e32 v[22:23], v[6:7], v[8:9]
	buffer_load_dword v8, off, s[20:23], 0 offset:144 ; 4-byte Folded Reload
	buffer_load_dword v9, off, s[20:23], 0 offset:148 ; 4-byte Folded Reload
	;; [unrolled: 1-line block ×4, first 2 shown]
	v_mul_f64 v[6:7], v[180:181], v[4:5]
	v_mul_f64 v[6:7], v[176:177], v[6:7]
	;; [unrolled: 1-line block ×4, first 2 shown]
	s_waitcnt vmcnt(2)
	v_fmac_f64_e32 v[22:23], v[6:7], v[8:9]
	buffer_load_dword v8, off, s[20:23], 0 offset:128 ; 4-byte Folded Reload
	buffer_load_dword v9, off, s[20:23], 0 offset:132 ; 4-byte Folded Reload
	;; [unrolled: 1-line block ×4, first 2 shown]
	v_mul_f64 v[6:7], v[172:173], v[4:5]
	v_mul_f64 v[6:7], v[168:169], v[6:7]
	s_waitcnt vmcnt(2)
	v_fmac_f64_e32 v[22:23], v[6:7], v[8:9]
	buffer_load_dword v8, off, s[20:23], 0 offset:96 ; 4-byte Folded Reload
	buffer_load_dword v9, off, s[20:23], 0 offset:100 ; 4-byte Folded Reload
	;; [unrolled: 1-line block ×4, first 2 shown]
	v_mul_f64 v[6:7], v[0:1], v[4:5]
	v_mul_f64 v[6:7], v[164:165], v[6:7]
	;; [unrolled: 1-line block ×6, first 2 shown]
	s_waitcnt vmcnt(2)
	v_fmac_f64_e32 v[22:23], v[6:7], v[8:9]
	v_accvgpr_read_b32 v6, a114
	v_accvgpr_read_b32 v7, a115
	v_fmac_f64_e32 v[22:23], v[4:5], v[6:7]
	v_mul_f64 v[4:5], v[188:189], v[2:3]
	v_accvgpr_read_b32 v6, a228
	v_mul_f64 v[4:5], v[184:185], v[4:5]
	v_accvgpr_read_b32 v7, a229
	v_fmac_f64_e32 v[22:23], v[4:5], v[6:7]
	buffer_load_dword v6, off, s[20:23], 0 offset:112 ; 4-byte Folded Reload
	buffer_load_dword v7, off, s[20:23], 0 offset:116 ; 4-byte Folded Reload
	;; [unrolled: 1-line block ×4, first 2 shown]
	v_mul_f64 v[4:5], v[180:181], v[2:3]
	v_mul_f64 v[4:5], v[176:177], v[4:5]
	s_waitcnt vmcnt(2)
	v_fmac_f64_e32 v[22:23], v[4:5], v[6:7]
	v_mul_f64 v[4:5], v[172:173], v[2:3]
	v_accvgpr_read_b32 v6, a242
	v_mul_f64 v[4:5], v[168:169], v[4:5]
	v_accvgpr_read_b32 v7, a243
	v_fmac_f64_e32 v[22:23], v[4:5], v[6:7]
	buffer_load_dword v4, off, s[20:23], 0 offset:80 ; 4-byte Folded Reload
	buffer_load_dword v5, off, s[20:23], 0 offset:84 ; 4-byte Folded Reload
	;; [unrolled: 1-line block ×4, first 2 shown]
	s_waitcnt vmcnt(2)
	v_fmac_f64_e32 v[22:23], v[0:1], v[4:5]
	v_mul_f64 v[0:1], v[16:17], v[2:3]
	v_mul_f64 v[0:1], v[18:19], v[0:1]
	v_fmac_f64_e32 v[22:23], v[0:1], v[160:161]
	global_store_dwordx2 v[214:215], v[22:23], off offset:2048
	s_cbranch_scc1 .LBB1_24
.LBB1_25:
	s_endpgm
	.section	.rodata,"a",@progbits
	.p2align	6, 0x0
	.amdhsa_kernel _ZN4RAJA34launch_new_reduce_global_fcn_fixedIZN8rajaperf4apps8MASS3DEA17runHipVariantImplILm64ELm0EEEvNS1_9VariantIDEEUlNS_14LaunchContextTINS_3hip33LaunchContextIndicesAndDimsPolicyINS7_14IndicesAndDimsILb0ELb0ELb0ELb0EEEEEEEE_Li64ENS_4expt15ForallParamPackIJEEEEEvT_T1_
		.amdhsa_group_segment_fixed_size 1168
		.amdhsa_private_segment_fixed_size 3256
		.amdhsa_kernarg_size 36
		.amdhsa_user_sgpr_count 6
		.amdhsa_user_sgpr_private_segment_buffer 1
		.amdhsa_user_sgpr_dispatch_ptr 0
		.amdhsa_user_sgpr_queue_ptr 0
		.amdhsa_user_sgpr_kernarg_segment_ptr 1
		.amdhsa_user_sgpr_dispatch_id 0
		.amdhsa_user_sgpr_flat_scratch_init 0
		.amdhsa_user_sgpr_kernarg_preload_length 0
		.amdhsa_user_sgpr_kernarg_preload_offset 0
		.amdhsa_user_sgpr_private_segment_size 0
		.amdhsa_uses_dynamic_stack 0
		.amdhsa_system_sgpr_private_segment_wavefront_offset 1
		.amdhsa_system_sgpr_workgroup_id_x 1
		.amdhsa_system_sgpr_workgroup_id_y 0
		.amdhsa_system_sgpr_workgroup_id_z 0
		.amdhsa_system_sgpr_workgroup_info 0
		.amdhsa_system_vgpr_workitem_id 2
		.amdhsa_next_free_vgpr 512
		.amdhsa_next_free_sgpr 24
		.amdhsa_accum_offset 256
		.amdhsa_reserve_vcc 1
		.amdhsa_reserve_flat_scratch 0
		.amdhsa_float_round_mode_32 0
		.amdhsa_float_round_mode_16_64 0
		.amdhsa_float_denorm_mode_32 3
		.amdhsa_float_denorm_mode_16_64 3
		.amdhsa_dx10_clamp 1
		.amdhsa_ieee_mode 1
		.amdhsa_fp16_overflow 0
		.amdhsa_tg_split 0
		.amdhsa_exception_fp_ieee_invalid_op 0
		.amdhsa_exception_fp_denorm_src 0
		.amdhsa_exception_fp_ieee_div_zero 0
		.amdhsa_exception_fp_ieee_overflow 0
		.amdhsa_exception_fp_ieee_underflow 0
		.amdhsa_exception_fp_ieee_inexact 0
		.amdhsa_exception_int_div_zero 0
	.end_amdhsa_kernel
	.section	.text._ZN4RAJA34launch_new_reduce_global_fcn_fixedIZN8rajaperf4apps8MASS3DEA17runHipVariantImplILm64ELm0EEEvNS1_9VariantIDEEUlNS_14LaunchContextTINS_3hip33LaunchContextIndicesAndDimsPolicyINS7_14IndicesAndDimsILb0ELb0ELb0ELb0EEEEEEEE_Li64ENS_4expt15ForallParamPackIJEEEEEvT_T1_,"axG",@progbits,_ZN4RAJA34launch_new_reduce_global_fcn_fixedIZN8rajaperf4apps8MASS3DEA17runHipVariantImplILm64ELm0EEEvNS1_9VariantIDEEUlNS_14LaunchContextTINS_3hip33LaunchContextIndicesAndDimsPolicyINS7_14IndicesAndDimsILb0ELb0ELb0ELb0EEEEEEEE_Li64ENS_4expt15ForallParamPackIJEEEEEvT_T1_,comdat
.Lfunc_end1:
	.size	_ZN4RAJA34launch_new_reduce_global_fcn_fixedIZN8rajaperf4apps8MASS3DEA17runHipVariantImplILm64ELm0EEEvNS1_9VariantIDEEUlNS_14LaunchContextTINS_3hip33LaunchContextIndicesAndDimsPolicyINS7_14IndicesAndDimsILb0ELb0ELb0ELb0EEEEEEEE_Li64ENS_4expt15ForallParamPackIJEEEEEvT_T1_, .Lfunc_end1-_ZN4RAJA34launch_new_reduce_global_fcn_fixedIZN8rajaperf4apps8MASS3DEA17runHipVariantImplILm64ELm0EEEvNS1_9VariantIDEEUlNS_14LaunchContextTINS_3hip33LaunchContextIndicesAndDimsPolicyINS7_14IndicesAndDimsILb0ELb0ELb0ELb0EEEEEEEE_Li64ENS_4expt15ForallParamPackIJEEEEEvT_T1_
                                        ; -- End function
	.section	.AMDGPU.csdata,"",@progbits
; Kernel info:
; codeLenInByte = 97256
; NumSgprs: 28
; NumVgprs: 256
; NumAgprs: 256
; TotalNumVgprs: 512
; ScratchSize: 3256
; MemoryBound: 0
; FloatMode: 240
; IeeeMode: 1
; LDSByteSize: 1168 bytes/workgroup (compile time only)
; SGPRBlocks: 3
; VGPRBlocks: 63
; NumSGPRsForWavesPerEU: 28
; NumVGPRsForWavesPerEU: 512
; AccumOffset: 256
; Occupancy: 1
; WaveLimiterHint : 1
; COMPUTE_PGM_RSRC2:SCRATCH_EN: 1
; COMPUTE_PGM_RSRC2:USER_SGPR: 6
; COMPUTE_PGM_RSRC2:TRAP_HANDLER: 0
; COMPUTE_PGM_RSRC2:TGID_X_EN: 1
; COMPUTE_PGM_RSRC2:TGID_Y_EN: 0
; COMPUTE_PGM_RSRC2:TGID_Z_EN: 0
; COMPUTE_PGM_RSRC2:TIDIG_COMP_CNT: 2
; COMPUTE_PGM_RSRC3_GFX90A:ACCUM_OFFSET: 63
; COMPUTE_PGM_RSRC3_GFX90A:TG_SPLIT: 0
	.section	.text._ZN4RAJA34launch_new_reduce_global_fcn_fixedIZN8rajaperf4apps8MASS3DEA17runHipVariantImplILm64ELm1EEEvNS1_9VariantIDEEUlNS_14LaunchContextTINS_3hip33LaunchContextIndicesAndDimsPolicyINS7_14IndicesAndDimsILb0ELb0ELb1ELb0EEEEEEEE_Li64ENS_4expt15ForallParamPackIJEEEEEvT_T1_,"axG",@progbits,_ZN4RAJA34launch_new_reduce_global_fcn_fixedIZN8rajaperf4apps8MASS3DEA17runHipVariantImplILm64ELm1EEEvNS1_9VariantIDEEUlNS_14LaunchContextTINS_3hip33LaunchContextIndicesAndDimsPolicyINS7_14IndicesAndDimsILb0ELb0ELb1ELb0EEEEEEEE_Li64ENS_4expt15ForallParamPackIJEEEEEvT_T1_,comdat
	.protected	_ZN4RAJA34launch_new_reduce_global_fcn_fixedIZN8rajaperf4apps8MASS3DEA17runHipVariantImplILm64ELm1EEEvNS1_9VariantIDEEUlNS_14LaunchContextTINS_3hip33LaunchContextIndicesAndDimsPolicyINS7_14IndicesAndDimsILb0ELb0ELb1ELb0EEEEEEEE_Li64ENS_4expt15ForallParamPackIJEEEEEvT_T1_ ; -- Begin function _ZN4RAJA34launch_new_reduce_global_fcn_fixedIZN8rajaperf4apps8MASS3DEA17runHipVariantImplILm64ELm1EEEvNS1_9VariantIDEEUlNS_14LaunchContextTINS_3hip33LaunchContextIndicesAndDimsPolicyINS7_14IndicesAndDimsILb0ELb0ELb1ELb0EEEEEEEE_Li64ENS_4expt15ForallParamPackIJEEEEEvT_T1_
	.globl	_ZN4RAJA34launch_new_reduce_global_fcn_fixedIZN8rajaperf4apps8MASS3DEA17runHipVariantImplILm64ELm1EEEvNS1_9VariantIDEEUlNS_14LaunchContextTINS_3hip33LaunchContextIndicesAndDimsPolicyINS7_14IndicesAndDimsILb0ELb0ELb1ELb0EEEEEEEE_Li64ENS_4expt15ForallParamPackIJEEEEEvT_T1_
	.p2align	8
	.type	_ZN4RAJA34launch_new_reduce_global_fcn_fixedIZN8rajaperf4apps8MASS3DEA17runHipVariantImplILm64ELm1EEEvNS1_9VariantIDEEUlNS_14LaunchContextTINS_3hip33LaunchContextIndicesAndDimsPolicyINS7_14IndicesAndDimsILb0ELb0ELb1ELb0EEEEEEEE_Li64ENS_4expt15ForallParamPackIJEEEEEvT_T1_,@function
_ZN4RAJA34launch_new_reduce_global_fcn_fixedIZN8rajaperf4apps8MASS3DEA17runHipVariantImplILm64ELm1EEEvNS1_9VariantIDEEUlNS_14LaunchContextTINS_3hip33LaunchContextIndicesAndDimsPolicyINS7_14IndicesAndDimsILb0ELb0ELb1ELb0EEEEEEEE_Li64ENS_4expt15ForallParamPackIJEEEEEvT_T1_: ; @_ZN4RAJA34launch_new_reduce_global_fcn_fixedIZN8rajaperf4apps8MASS3DEA17runHipVariantImplILm64ELm1EEEvNS1_9VariantIDEEUlNS_14LaunchContextTINS_3hip33LaunchContextIndicesAndDimsPolicyINS7_14IndicesAndDimsILb0ELb0ELb1ELb0EEEEEEEE_Li64ENS_4expt15ForallParamPackIJEEEEEvT_T1_
; %bb.0:
	s_load_dwordx8 s[8:15], s[4:5], 0x0
	s_mov_b32 s7, 0
	v_pk_mov_b32 v[2:3], s[6:7], s[6:7] op_sel:[0,1]
	s_waitcnt lgkmcnt(0)
	v_cmp_le_i64_e32 vcc, s[8:9], v[2:3]
	s_cbranch_vccnz .LBB2_39
; %bb.1:
	s_load_dwordx2 s[0:1], s[4:5], 0x34
	v_bfe_u32 v32, v0, 20, 10
	v_cmp_ne_u32_e32 vcc, 0, v32
	v_and_b32_e32 v34, 0x3ff, v0
	s_waitcnt lgkmcnt(0)
	s_and_b32 s16, s0, 0xffff
	s_and_saveexec_b64 s[2:3], vcc
	s_xor_b64 s[2:3], exec, s[2:3]
; %bb.2:
	s_mov_b32 s17, 0
	v_mov_b32_e32 v35, 0
; %bb.3:
	s_or_saveexec_b64 s[18:19], s[2:3]
	s_and_b32 s26, s1, 0xffff
	s_lshr_b32 s27, s0, 16
	v_pk_mov_b32 v[2:3], s[16:17], s[16:17] op_sel:[0,1]
	v_bfe_u32 v36, v0, 10, 10
	s_xor_b64 exec, exec, s[18:19]
	s_cbranch_execz .LBB2_13
; %bb.4:
	v_mov_b32_e32 v35, 0
	v_lshlrev_b32_e32 v0, 3, v36
	v_mov_b32_e32 v1, v35
	v_mad_u64_u32 v[0:1], s[4:5], v34, 40, v[0:1]
	s_cmp_lg_u32 s26, 0
	v_mov_b32_e32 v2, s11
	v_add_co_u32_e32 v0, vcc, s10, v0
	v_addc_co_u32_e32 v1, vcc, v2, v1, vcc
	s_cselect_b64 s[4:5], -1, 0
	v_lshlrev_b32_e32 v2, 5, v36
	v_lshlrev_b32_e32 v3, 3, v34
	s_movk_i32 s8, 0x3f0
	s_mov_b32 s17, 0
	v_add3_u32 v10, v2, v3, s8
	v_cndmask_b32_e64 v2, 0, 1, s[4:5]
	v_cmp_gt_u32_e64 s[0:1], 4, v34
	v_cmp_gt_u32_e64 s[2:3], 5, v36
	v_mov_b32_e32 v37, v35
	s_mov_b32 s28, s17
	s_mul_i32 s29, s16, 40
	s_mov_b32 s30, s17
	s_lshl_b32 s31, s27, 3
	s_mov_b32 s33, s17
	s_lshl_b32 s34, s16, 3
	s_lshl_b32 s35, s27, 5
	v_cmp_ne_u32_e64 s[4:5], 1, v2
	s_branch .LBB2_6
.LBB2_5:                                ;   in Loop: Header=BB2_6 Depth=1
	s_or_b64 exec, exec, s[10:11]
	s_and_b64 vcc, exec, s[4:5]
	s_cbranch_vccz .LBB2_12
.LBB2_6:                                ; =>This Loop Header: Depth=1
                                        ;     Child Loop BB2_9 Depth 2
                                        ;       Child Loop BB2_11 Depth 3
	s_and_saveexec_b64 s[10:11], s[0:1]
	s_cbranch_execz .LBB2_5
; %bb.7:                                ;   in Loop: Header=BB2_6 Depth=1
	s_mov_b64 s[20:21], 0
	v_mov_b32_e32 v11, v10
	v_pk_mov_b32 v[2:3], v[0:1], v[0:1] op_sel:[0,1]
	v_pk_mov_b32 v[4:5], v[34:35], v[34:35] op_sel:[0,1]
	s_branch .LBB2_9
.LBB2_8:                                ;   in Loop: Header=BB2_9 Depth=2
	s_or_b64 exec, exec, s[22:23]
	v_mov_b32_e32 v6, s17
	v_add_co_u32_e32 v4, vcc, s16, v4
	v_addc_co_u32_e32 v5, vcc, v5, v6, vcc
	v_mov_b32_e32 v6, s30
	v_add_co_u32_e32 v2, vcc, s29, v2
	v_addc_co_u32_e32 v3, vcc, v3, v6, vcc
	v_cmp_lt_u64_e32 vcc, 3, v[4:5]
	s_or_b64 s[20:21], vcc, s[20:21]
	v_add_u32_e32 v11, s34, v11
	s_andn2_b64 exec, exec, s[20:21]
	s_cbranch_execz .LBB2_5
.LBB2_9:                                ;   Parent Loop BB2_6 Depth=1
                                        ; =>  This Loop Header: Depth=2
                                        ;       Child Loop BB2_11 Depth 3
	s_and_saveexec_b64 s[22:23], s[2:3]
	s_cbranch_execz .LBB2_8
; %bb.10:                               ;   in Loop: Header=BB2_9 Depth=2
	s_mov_b64 s[24:25], 0
	v_mov_b32_e32 v12, v11
	v_pk_mov_b32 v[6:7], v[2:3], v[2:3] op_sel:[0,1]
	v_pk_mov_b32 v[8:9], v[36:37], v[36:37] op_sel:[0,1]
.LBB2_11:                               ;   Parent Loop BB2_6 Depth=1
                                        ;     Parent Loop BB2_9 Depth=2
                                        ; =>    This Inner Loop Header: Depth=3
	global_load_dwordx2 v[14:15], v[6:7], off
	v_mov_b32_e32 v13, s28
	v_mov_b32_e32 v16, s33
	v_add_co_u32_e32 v6, vcc, s31, v6
	v_add_co_u32_e64 v8, s[8:9], s27, v8
	v_addc_co_u32_e64 v9, s[8:9], v9, v13, s[8:9]
	v_addc_co_u32_e32 v7, vcc, v7, v16, vcc
	v_cmp_lt_u64_e32 vcc, 4, v[8:9]
	s_or_b64 s[24:25], vcc, s[24:25]
	s_waitcnt vmcnt(0)
	ds_write_b64 v12, v[14:15]
	v_add_u32_e32 v12, s35, v12
	s_andn2_b64 exec, exec, s[24:25]
	s_cbranch_execnz .LBB2_11
	s_branch .LBB2_8
.LBB2_12:
	v_pk_mov_b32 v[2:3], s[16:17], s[16:17] op_sel:[0,1]
.LBB2_13:
	s_or_b64 exec, exec, s[18:19]
	s_mov_b32 s17, 0
	v_cmp_gt_u32_e32 vcc, 5, v34
	s_and_saveexec_b64 s[4:5], vcc
	s_cbranch_execz .LBB2_22
; %bb.14:
	s_movk_i32 s2, 0xc8
	v_mul_lo_u32 v0, v34, s2
	v_mul_u32_u24_e32 v1, 40, v36
	v_lshlrev_b32_e32 v4, 3, v32
	v_add3_u32 v16, v0, v1, v4
	v_mul_hi_u32_u24_e32 v1, 0xc8, v32
	v_mul_u32_u24_e32 v0, 0xc8, v32
	v_mov_b32_e32 v4, 0x3e8
	v_mul_lo_u32 v17, v2, s2
	v_mad_u64_u32 v[0:1], s[2:3], s6, v4, v[0:1]
	v_mad_u64_u32 v[0:1], s[2:3], v36, 40, v[0:1]
	v_lshlrev_b64 v[4:5], 3, v[34:35]
	v_add_co_u32_e64 v0, s[2:3], v0, v4
	v_addc_co_u32_e64 v1, s[2:3], v1, v5, s[2:3]
	v_mov_b32_e32 v37, 0
	v_mov_b32_e32 v4, s13
	v_add_co_u32_e64 v0, s[2:3], s12, v0
	v_cmp_gt_u32_e32 vcc, 5, v36
	v_cmp_gt_u32_e64 s[0:1], 5, v32
	v_mov_b32_e32 v33, v37
	s_mul_i32 s22, s27, 40
	s_lshl_b32 s23, s26, 3
	v_addc_co_u32_e64 v1, s[2:3], v4, v1, s[2:3]
	v_lshlrev_b64 v[4:5], 3, v[2:3]
	s_mov_b32 s24, s17
	s_mul_i32 s25, s26, 0xc8
	s_mov_b32 s28, s17
	s_mov_b64 s[8:9], 0
	v_pk_mov_b32 v[6:7], v[34:35], v[34:35] op_sel:[0,1]
	s_branch .LBB2_16
.LBB2_15:                               ;   in Loop: Header=BB2_16 Depth=1
	s_or_b64 exec, exec, s[10:11]
	v_add_co_u32_e64 v6, s[2:3], v6, v2
	v_addc_co_u32_e64 v7, s[2:3], v7, v3, s[2:3]
	v_cmp_lt_u64_e64 s[2:3], 4, v[6:7]
	s_or_b64 s[8:9], s[2:3], s[8:9]
	v_add_co_u32_e64 v0, s[2:3], v0, v4
	v_add_u32_e32 v16, v16, v17
	v_addc_co_u32_e64 v1, s[2:3], v1, v5, s[2:3]
	s_andn2_b64 exec, exec, s[8:9]
	s_cbranch_execz .LBB2_22
.LBB2_16:                               ; =>This Loop Header: Depth=1
                                        ;     Child Loop BB2_19 Depth 2
                                        ;       Child Loop BB2_21 Depth 3
	s_and_saveexec_b64 s[10:11], vcc
	s_cbranch_execz .LBB2_15
; %bb.17:                               ;   in Loop: Header=BB2_16 Depth=1
	s_mov_b64 s[12:13], 0
	v_pk_mov_b32 v[8:9], v[0:1], v[0:1] op_sel:[0,1]
	v_mov_b32_e32 v18, v16
	v_pk_mov_b32 v[10:11], v[36:37], v[36:37] op_sel:[0,1]
	s_branch .LBB2_19
.LBB2_18:                               ;   in Loop: Header=BB2_19 Depth=2
	s_or_b64 exec, exec, s[18:19]
	v_mov_b32_e32 v12, s17
	v_add_co_u32_e64 v10, s[2:3], s27, v10
	v_addc_co_u32_e64 v11, s[2:3], v11, v12, s[2:3]
	v_cmp_lt_u64_e64 s[2:3], 4, v[10:11]
	v_mov_b32_e32 v12, s24
	s_or_b64 s[12:13], s[2:3], s[12:13]
	v_add_co_u32_e64 v8, s[2:3], s22, v8
	v_add_u32_e32 v18, s22, v18
	v_addc_co_u32_e64 v9, s[2:3], v9, v12, s[2:3]
	s_andn2_b64 exec, exec, s[12:13]
	s_cbranch_execz .LBB2_15
.LBB2_19:                               ;   Parent Loop BB2_16 Depth=1
                                        ; =>  This Loop Header: Depth=2
                                        ;       Child Loop BB2_21 Depth 3
	s_and_saveexec_b64 s[18:19], s[0:1]
	s_cbranch_execz .LBB2_18
; %bb.20:                               ;   in Loop: Header=BB2_19 Depth=2
	s_mov_b64 s[20:21], 0
	v_pk_mov_b32 v[12:13], v[8:9], v[8:9] op_sel:[0,1]
	v_mov_b32_e32 v19, v18
	v_pk_mov_b32 v[14:15], v[32:33], v[32:33] op_sel:[0,1]
.LBB2_21:                               ;   Parent Loop BB2_16 Depth=1
                                        ;     Parent Loop BB2_19 Depth=2
                                        ; =>    This Inner Loop Header: Depth=3
	global_load_dwordx2 v[20:21], v[12:13], off
	v_add_co_u32_e64 v14, s[2:3], s26, v14
	v_addc_co_u32_e64 v15, s[2:3], 0, v15, s[2:3]
	v_mov_b32_e32 v22, s28
	v_add_co_u32_e64 v12, s[2:3], s25, v12
	v_addc_co_u32_e64 v13, s[2:3], v13, v22, s[2:3]
	v_cmp_lt_u64_e64 s[2:3], 4, v[14:15]
	s_or_b64 s[20:21], s[2:3], s[20:21]
	s_waitcnt vmcnt(0)
	ds_write_b64 v19, v[20:21]
	v_add_u32_e32 v19, s23, v19
	s_andn2_b64 exec, exec, s[20:21]
	s_cbranch_execnz .LBB2_21
	s_branch .LBB2_18
.LBB2_22:
	s_or_b64 exec, exec, s[4:5]
	v_cmp_gt_u32_e32 vcc, 4, v34
	s_waitcnt lgkmcnt(0)
	; wave barrier
	s_waitcnt lgkmcnt(0)
	s_and_saveexec_b64 s[0:1], vcc
	s_cbranch_execz .LBB2_39
; %bb.23:
	s_lshl_b64 s[2:3], s[6:7], 15
	s_mov_b32 s17, 0
	v_mov_b32_e32 v37, 0
	s_add_u32 s23, s14, s2
	v_mov_b32_e32 v0, 0x3f0
	s_mov_b32 s22, s17
	v_cmp_gt_u32_e32 vcc, 4, v36
	v_cmp_gt_u32_e64 s[0:1], 4, v32
	v_mov_b32_e32 v33, v37
	s_addc_u32 s24, s15, s3
	v_lshl_add_u32 v52, v34, 3, v0
	s_lshl_b32 s25, s16, 3
	s_mov_b64 s[4:5], 0
	s_branch .LBB2_25
.LBB2_24:                               ;   in Loop: Header=BB2_25 Depth=1
	s_or_b64 exec, exec, s[6:7]
	v_mov_b32_e32 v0, s17
	v_add_co_u32_e64 v34, s[2:3], s16, v34
	v_addc_co_u32_e64 v35, s[2:3], v35, v0, s[2:3]
	v_cmp_lt_u64_e64 s[2:3], 3, v[34:35]
	s_or_b64 s[4:5], s[2:3], s[4:5]
	v_add_u32_e32 v52, s25, v52
	s_andn2_b64 exec, exec, s[4:5]
	s_cbranch_execz .LBB2_39
.LBB2_25:                               ; =>This Loop Header: Depth=1
                                        ;     Child Loop BB2_28 Depth 2
                                        ;       Child Loop BB2_30 Depth 3
                                        ;         Child Loop BB2_31 Depth 4
                                        ;           Child Loop BB2_32 Depth 5
                                        ;             Child Loop BB2_33 Depth 6
                                        ;               Child Loop BB2_34 Depth 7
	s_and_saveexec_b64 s[6:7], vcc
	s_cbranch_execz .LBB2_24
; %bb.26:                               ;   in Loop: Header=BB2_25 Depth=1
	v_lshlrev_b64 v[0:1], 3, v[34:35]
	v_mov_b32_e32 v2, s24
	v_add_co_u32_e64 v53, s[2:3], s23, v0
	v_addc_co_u32_e64 v54, s[2:3], v2, v1, s[2:3]
	s_mov_b64 s[8:9], 0
	v_pk_mov_b32 v[38:39], v[36:37], v[36:37] op_sel:[0,1]
	s_branch .LBB2_28
.LBB2_27:                               ;   in Loop: Header=BB2_28 Depth=2
	s_or_b64 exec, exec, s[10:11]
	v_mov_b32_e32 v0, s22
	v_add_co_u32_e64 v38, s[2:3], s27, v38
	v_addc_co_u32_e64 v39, s[2:3], v39, v0, s[2:3]
	v_cmp_lt_u64_e64 s[2:3], 3, v[38:39]
	s_or_b64 s[8:9], s[2:3], s[8:9]
	s_andn2_b64 exec, exec, s[8:9]
	s_cbranch_execz .LBB2_24
.LBB2_28:                               ;   Parent Loop BB2_25 Depth=1
                                        ; =>  This Loop Header: Depth=2
                                        ;       Child Loop BB2_30 Depth 3
                                        ;         Child Loop BB2_31 Depth 4
                                        ;           Child Loop BB2_32 Depth 5
                                        ;             Child Loop BB2_33 Depth 6
                                        ;               Child Loop BB2_34 Depth 7
	s_and_saveexec_b64 s[10:11], s[0:1]
	s_cbranch_execz .LBB2_27
; %bb.29:                               ;   in Loop: Header=BB2_28 Depth=2
	v_lshlrev_b32_e32 v10, 3, v38
	ds_read2_b64 v[0:3], v10 offset0:126 offset1:130
	ds_read2_b64 v[4:7], v10 offset0:134 offset1:138
	ds_read_b64 v[40:41], v10 offset:1136
	v_lshlrev_b64 v[8:9], 5, v[38:39]
	v_add_co_u32_e64 v55, s[2:3], v53, v8
	v_addc_co_u32_e64 v56, s[2:3], v54, v9, s[2:3]
	s_mov_b64 s[12:13], 0
	v_pk_mov_b32 v[42:43], v[32:33], v[32:33] op_sel:[0,1]
.LBB2_30:                               ;   Parent Loop BB2_25 Depth=1
                                        ;     Parent Loop BB2_28 Depth=2
                                        ; =>    This Loop Header: Depth=3
                                        ;         Child Loop BB2_31 Depth 4
                                        ;           Child Loop BB2_32 Depth 5
                                        ;             Child Loop BB2_33 Depth 6
                                        ;               Child Loop BB2_34 Depth 7
	v_lshlrev_b32_e32 v18, 3, v42
	ds_read2_b64 v[8:11], v18 offset0:126 offset1:130
	ds_read2_b64 v[12:15], v18 offset0:134 offset1:138
	ds_read_b64 v[44:45], v18 offset:1136
	v_lshlrev_b64 v[16:17], 7, v[42:43]
	v_add_co_u32_e64 v57, s[2:3], v55, v16
	v_addc_co_u32_e64 v58, s[2:3], v56, v17, s[2:3]
	s_movk_i32 s28, 0x3f0
	s_mov_b64 s[14:15], 0
.LBB2_31:                               ;   Parent Loop BB2_25 Depth=1
                                        ;     Parent Loop BB2_28 Depth=2
                                        ;       Parent Loop BB2_30 Depth=3
                                        ; =>      This Loop Header: Depth=4
                                        ;           Child Loop BB2_32 Depth 5
                                        ;             Child Loop BB2_33 Depth 6
                                        ;               Child Loop BB2_34 Depth 7
	s_lshl_b64 s[2:3], s[14:15], 9
	v_mov_b32_e32 v16, s3
	v_add_co_u32_e64 v59, s[2:3], s2, v57
	v_addc_co_u32_e64 v60, s[2:3], v58, v16, s[2:3]
	s_mov_b64 s[18:19], 0
.LBB2_32:                               ;   Parent Loop BB2_25 Depth=1
                                        ;     Parent Loop BB2_28 Depth=2
                                        ;       Parent Loop BB2_30 Depth=3
                                        ;         Parent Loop BB2_31 Depth=4
                                        ; =>        This Loop Header: Depth=5
                                        ;             Child Loop BB2_33 Depth 6
                                        ;               Child Loop BB2_34 Depth 7
	s_lshl_b32 s20, s18, 3
	v_mov_b32_e32 v25, s20
	ds_read2_b64 v[16:19], v25 offset0:126 offset1:130
	ds_read2_b64 v[20:23], v25 offset0:134 offset1:138
	ds_read_b64 v[46:47], v25 offset:1136
	s_lshl_b64 s[2:3], s[18:19], 11
	v_mov_b32_e32 v24, s3
	v_add_co_u32_e64 v61, s[2:3], s2, v59
	v_addc_co_u32_e64 v62, s[2:3], v60, v24, s[2:3]
	s_mov_b64 s[20:21], 0
.LBB2_33:                               ;   Parent Loop BB2_25 Depth=1
                                        ;     Parent Loop BB2_28 Depth=2
                                        ;       Parent Loop BB2_30 Depth=3
                                        ;         Parent Loop BB2_31 Depth=4
                                        ;           Parent Loop BB2_32 Depth=5
                                        ; =>          This Loop Header: Depth=6
                                        ;               Child Loop BB2_34 Depth 7
	s_lshl_b32 s2, s20, 3
	v_mov_b32_e32 v48, s2
	ds_read2_b64 v[24:27], v48 offset0:126 offset1:130
	ds_read2_b64 v[28:31], v48 offset0:134 offset1:138
	ds_read_b64 v[50:51], v48 offset:1136
	s_mov_b64 s[2:3], 5
	s_mov_b32 s29, 0
	v_pk_mov_b32 v[48:49], 0, 0
	v_mov_b32_e32 v63, v52
	s_mov_b32 s30, s28
.LBB2_34:                               ;   Parent Loop BB2_25 Depth=1
                                        ;     Parent Loop BB2_28 Depth=2
                                        ;       Parent Loop BB2_30 Depth=3
                                        ;         Parent Loop BB2_31 Depth=4
                                        ;           Parent Loop BB2_32 Depth=5
                                        ;             Parent Loop BB2_33 Depth=6
                                        ; =>            This Inner Loop Header: Depth=7
	v_mov_b32_e32 v66, s30
	ds_read_b64 v[64:65], v63
	ds_read_b64 v[66:67], v66
	v_mov_b32_e32 v74, s29
	s_add_u32 s2, s2, -1
	s_addc_u32 s3, s3, -1
	s_addk_i32 s29, 0xc8
	s_waitcnt lgkmcnt(0)
	v_mul_f64 v[68:69], v[64:65], v[66:67]
	v_mul_f64 v[64:65], v[0:1], v[68:69]
	;; [unrolled: 1-line block ×5, first 2 shown]
	ds_read2_b64 v[64:67], v74 offset1:1
	s_add_i32 s30, s30, 32
	v_add_u32_e32 v63, 32, v63
	s_cmp_lg_u64 s[2:3], 0
	s_waitcnt lgkmcnt(0)
	v_fmac_f64_e32 v[48:49], v[64:65], v[72:73]
	v_mul_f64 v[64:65], v[10:11], v[70:71]
	v_mul_f64 v[64:65], v[26:27], v[64:65]
	v_fmac_f64_e32 v[48:49], v[66:67], v[64:65]
	v_mul_f64 v[64:65], v[12:13], v[70:71]
	v_mul_f64 v[72:73], v[28:29], v[64:65]
	ds_read2_b64 v[64:67], v74 offset0:2 offset1:3
	s_waitcnt lgkmcnt(0)
	v_fmac_f64_e32 v[48:49], v[64:65], v[72:73]
	v_mul_f64 v[64:65], v[14:15], v[70:71]
	v_mul_f64 v[64:65], v[30:31], v[64:65]
	v_fmac_f64_e32 v[48:49], v[66:67], v[64:65]
	v_mul_f64 v[64:65], v[44:45], v[70:71]
	v_mul_f64 v[70:71], v[50:51], v[64:65]
	ds_read2_b64 v[64:67], v74 offset0:4 offset1:5
	s_waitcnt lgkmcnt(0)
	v_fmac_f64_e32 v[48:49], v[70:71], v[64:65]
	v_mul_f64 v[64:65], v[2:3], v[68:69]
	v_mul_f64 v[70:71], v[18:19], v[64:65]
	;; [unrolled: 1-line block ×4, first 2 shown]
	v_fmac_f64_e32 v[48:49], v[64:65], v[66:67]
	v_mul_f64 v[64:65], v[10:11], v[70:71]
	v_mul_f64 v[72:73], v[26:27], v[64:65]
	ds_read2_b64 v[64:67], v74 offset0:6 offset1:7
	s_waitcnt lgkmcnt(0)
	v_fmac_f64_e32 v[48:49], v[72:73], v[64:65]
	v_mul_f64 v[64:65], v[12:13], v[70:71]
	v_mul_f64 v[64:65], v[28:29], v[64:65]
	v_fmac_f64_e32 v[48:49], v[64:65], v[66:67]
	v_mul_f64 v[64:65], v[14:15], v[70:71]
	v_mul_f64 v[72:73], v[30:31], v[64:65]
	ds_read2_b64 v[64:67], v74 offset0:8 offset1:9
	s_waitcnt lgkmcnt(0)
	v_fmac_f64_e32 v[48:49], v[72:73], v[64:65]
	v_mul_f64 v[64:65], v[44:45], v[70:71]
	v_mul_f64 v[64:65], v[50:51], v[64:65]
	v_fmac_f64_e32 v[48:49], v[64:65], v[66:67]
	v_mul_f64 v[64:65], v[4:5], v[68:69]
	v_mul_f64 v[70:71], v[20:21], v[64:65]
	;; [unrolled: 1-line block ×4, first 2 shown]
	ds_read2_b64 v[64:67], v74 offset0:10 offset1:11
	s_waitcnt lgkmcnt(0)
	v_fmac_f64_e32 v[48:49], v[72:73], v[64:65]
	v_mul_f64 v[64:65], v[10:11], v[70:71]
	v_mul_f64 v[64:65], v[26:27], v[64:65]
	v_fmac_f64_e32 v[48:49], v[64:65], v[66:67]
	v_mul_f64 v[64:65], v[12:13], v[70:71]
	v_mul_f64 v[72:73], v[28:29], v[64:65]
	ds_read2_b64 v[64:67], v74 offset0:12 offset1:13
	s_waitcnt lgkmcnt(0)
	v_fmac_f64_e32 v[48:49], v[72:73], v[64:65]
	v_mul_f64 v[64:65], v[14:15], v[70:71]
	v_mul_f64 v[64:65], v[30:31], v[64:65]
	v_fmac_f64_e32 v[48:49], v[64:65], v[66:67]
	v_mul_f64 v[64:65], v[44:45], v[70:71]
	v_mul_f64 v[70:71], v[50:51], v[64:65]
	ds_read2_b64 v[64:67], v74 offset0:14 offset1:15
	s_waitcnt lgkmcnt(0)
	v_fmac_f64_e32 v[48:49], v[70:71], v[64:65]
	v_mul_f64 v[64:65], v[6:7], v[68:69]
	v_mul_f64 v[70:71], v[22:23], v[64:65]
	;; [unrolled: 1-line block ×4, first 2 shown]
	v_fmac_f64_e32 v[48:49], v[64:65], v[66:67]
	v_mul_f64 v[64:65], v[10:11], v[70:71]
	v_mul_f64 v[72:73], v[26:27], v[64:65]
	ds_read2_b64 v[64:67], v74 offset0:16 offset1:17
	s_waitcnt lgkmcnt(0)
	v_fmac_f64_e32 v[48:49], v[72:73], v[64:65]
	v_mul_f64 v[64:65], v[12:13], v[70:71]
	v_mul_f64 v[64:65], v[28:29], v[64:65]
	v_fmac_f64_e32 v[48:49], v[64:65], v[66:67]
	v_mul_f64 v[64:65], v[14:15], v[70:71]
	v_mul_f64 v[72:73], v[30:31], v[64:65]
	ds_read2_b64 v[64:67], v74 offset0:18 offset1:19
	s_waitcnt lgkmcnt(0)
	v_fmac_f64_e32 v[48:49], v[72:73], v[64:65]
	v_mul_f64 v[64:65], v[44:45], v[70:71]
	v_mul_f64 v[64:65], v[50:51], v[64:65]
	v_fmac_f64_e32 v[48:49], v[64:65], v[66:67]
	v_mul_f64 v[64:65], v[40:41], v[68:69]
	v_mul_f64 v[68:69], v[46:47], v[64:65]
	;; [unrolled: 1-line block ×4, first 2 shown]
	ds_read2_b64 v[64:67], v74 offset0:20 offset1:21
	s_waitcnt lgkmcnt(0)
	v_fmac_f64_e32 v[48:49], v[70:71], v[64:65]
	v_mul_f64 v[64:65], v[10:11], v[68:69]
	v_mul_f64 v[64:65], v[26:27], v[64:65]
	v_fmac_f64_e32 v[48:49], v[64:65], v[66:67]
	v_mul_f64 v[64:65], v[12:13], v[68:69]
	v_mul_f64 v[70:71], v[28:29], v[64:65]
	ds_read2_b64 v[64:67], v74 offset0:22 offset1:23
	s_waitcnt lgkmcnt(0)
	v_fmac_f64_e32 v[48:49], v[70:71], v[64:65]
	v_mul_f64 v[64:65], v[14:15], v[68:69]
	v_mul_f64 v[64:65], v[30:31], v[64:65]
	v_fmac_f64_e32 v[48:49], v[64:65], v[66:67]
	ds_read_b64 v[66:67], v74 offset:192
	v_mul_f64 v[64:65], v[44:45], v[68:69]
	v_mul_f64 v[64:65], v[50:51], v[64:65]
	s_waitcnt lgkmcnt(0)
	v_fmac_f64_e32 v[48:49], v[64:65], v[66:67]
	s_cbranch_scc1 .LBB2_34
; %bb.35:                               ;   in Loop: Header=BB2_33 Depth=6
	s_lshl_b64 s[2:3], s[20:21], 13
	s_add_u32 s20, s20, 1
	v_mov_b32_e32 v25, s3
	v_add_co_u32_e64 v24, s[2:3], s2, v61
	s_addc_u32 s21, s21, 0
	v_addc_co_u32_e64 v25, s[2:3], v62, v25, s[2:3]
	s_cmp_eq_u64 s[20:21], 4
	global_store_dwordx2 v[24:25], v[48:49], off
	s_cbranch_scc0 .LBB2_33
; %bb.36:                               ;   in Loop: Header=BB2_32 Depth=5
	s_add_u32 s18, s18, 1
	s_addc_u32 s19, s19, 0
	s_cmp_eq_u64 s[18:19], 4
	s_cbranch_scc0 .LBB2_32
; %bb.37:                               ;   in Loop: Header=BB2_31 Depth=4
	s_add_u32 s14, s14, 1
	s_addc_u32 s15, s15, 0
	s_add_i32 s28, s28, 8
	s_cmp_eq_u64 s[14:15], 4
	s_cbranch_scc0 .LBB2_31
; %bb.38:                               ;   in Loop: Header=BB2_30 Depth=3
	v_add_co_u32_e64 v42, s[2:3], s26, v42
	v_addc_co_u32_e64 v43, s[2:3], 0, v43, s[2:3]
	v_cmp_lt_u64_e64 s[2:3], 3, v[42:43]
	s_or_b64 s[12:13], s[2:3], s[12:13]
	s_andn2_b64 exec, exec, s[12:13]
	s_cbranch_execnz .LBB2_30
	s_branch .LBB2_27
.LBB2_39:
	s_endpgm
	.section	.rodata,"a",@progbits
	.p2align	6, 0x0
	.amdhsa_kernel _ZN4RAJA34launch_new_reduce_global_fcn_fixedIZN8rajaperf4apps8MASS3DEA17runHipVariantImplILm64ELm1EEEvNS1_9VariantIDEEUlNS_14LaunchContextTINS_3hip33LaunchContextIndicesAndDimsPolicyINS7_14IndicesAndDimsILb0ELb0ELb1ELb0EEEEEEEE_Li64ENS_4expt15ForallParamPackIJEEEEEvT_T1_
		.amdhsa_group_segment_fixed_size 1168
		.amdhsa_private_segment_fixed_size 0
		.amdhsa_kernarg_size 296
		.amdhsa_user_sgpr_count 6
		.amdhsa_user_sgpr_private_segment_buffer 1
		.amdhsa_user_sgpr_dispatch_ptr 0
		.amdhsa_user_sgpr_queue_ptr 0
		.amdhsa_user_sgpr_kernarg_segment_ptr 1
		.amdhsa_user_sgpr_dispatch_id 0
		.amdhsa_user_sgpr_flat_scratch_init 0
		.amdhsa_user_sgpr_kernarg_preload_length 0
		.amdhsa_user_sgpr_kernarg_preload_offset 0
		.amdhsa_user_sgpr_private_segment_size 0
		.amdhsa_uses_dynamic_stack 0
		.amdhsa_system_sgpr_private_segment_wavefront_offset 0
		.amdhsa_system_sgpr_workgroup_id_x 1
		.amdhsa_system_sgpr_workgroup_id_y 0
		.amdhsa_system_sgpr_workgroup_id_z 0
		.amdhsa_system_sgpr_workgroup_info 0
		.amdhsa_system_vgpr_workitem_id 2
		.amdhsa_next_free_vgpr 75
		.amdhsa_next_free_sgpr 36
		.amdhsa_accum_offset 76
		.amdhsa_reserve_vcc 1
		.amdhsa_reserve_flat_scratch 0
		.amdhsa_float_round_mode_32 0
		.amdhsa_float_round_mode_16_64 0
		.amdhsa_float_denorm_mode_32 3
		.amdhsa_float_denorm_mode_16_64 3
		.amdhsa_dx10_clamp 1
		.amdhsa_ieee_mode 1
		.amdhsa_fp16_overflow 0
		.amdhsa_tg_split 0
		.amdhsa_exception_fp_ieee_invalid_op 0
		.amdhsa_exception_fp_denorm_src 0
		.amdhsa_exception_fp_ieee_div_zero 0
		.amdhsa_exception_fp_ieee_overflow 0
		.amdhsa_exception_fp_ieee_underflow 0
		.amdhsa_exception_fp_ieee_inexact 0
		.amdhsa_exception_int_div_zero 0
	.end_amdhsa_kernel
	.section	.text._ZN4RAJA34launch_new_reduce_global_fcn_fixedIZN8rajaperf4apps8MASS3DEA17runHipVariantImplILm64ELm1EEEvNS1_9VariantIDEEUlNS_14LaunchContextTINS_3hip33LaunchContextIndicesAndDimsPolicyINS7_14IndicesAndDimsILb0ELb0ELb1ELb0EEEEEEEE_Li64ENS_4expt15ForallParamPackIJEEEEEvT_T1_,"axG",@progbits,_ZN4RAJA34launch_new_reduce_global_fcn_fixedIZN8rajaperf4apps8MASS3DEA17runHipVariantImplILm64ELm1EEEvNS1_9VariantIDEEUlNS_14LaunchContextTINS_3hip33LaunchContextIndicesAndDimsPolicyINS7_14IndicesAndDimsILb0ELb0ELb1ELb0EEEEEEEE_Li64ENS_4expt15ForallParamPackIJEEEEEvT_T1_,comdat
.Lfunc_end2:
	.size	_ZN4RAJA34launch_new_reduce_global_fcn_fixedIZN8rajaperf4apps8MASS3DEA17runHipVariantImplILm64ELm1EEEvNS1_9VariantIDEEUlNS_14LaunchContextTINS_3hip33LaunchContextIndicesAndDimsPolicyINS7_14IndicesAndDimsILb0ELb0ELb1ELb0EEEEEEEE_Li64ENS_4expt15ForallParamPackIJEEEEEvT_T1_, .Lfunc_end2-_ZN4RAJA34launch_new_reduce_global_fcn_fixedIZN8rajaperf4apps8MASS3DEA17runHipVariantImplILm64ELm1EEEvNS1_9VariantIDEEUlNS_14LaunchContextTINS_3hip33LaunchContextIndicesAndDimsPolicyINS7_14IndicesAndDimsILb0ELb0ELb1ELb0EEEEEEEE_Li64ENS_4expt15ForallParamPackIJEEEEEvT_T1_
                                        ; -- End function
	.section	.AMDGPU.csdata,"",@progbits
; Kernel info:
; codeLenInByte = 2400
; NumSgprs: 40
; NumVgprs: 75
; NumAgprs: 0
; TotalNumVgprs: 75
; ScratchSize: 0
; MemoryBound: 0
; FloatMode: 240
; IeeeMode: 1
; LDSByteSize: 1168 bytes/workgroup (compile time only)
; SGPRBlocks: 4
; VGPRBlocks: 9
; NumSGPRsForWavesPerEU: 40
; NumVGPRsForWavesPerEU: 75
; AccumOffset: 76
; Occupancy: 6
; WaveLimiterHint : 0
; COMPUTE_PGM_RSRC2:SCRATCH_EN: 0
; COMPUTE_PGM_RSRC2:USER_SGPR: 6
; COMPUTE_PGM_RSRC2:TRAP_HANDLER: 0
; COMPUTE_PGM_RSRC2:TGID_X_EN: 1
; COMPUTE_PGM_RSRC2:TGID_Y_EN: 0
; COMPUTE_PGM_RSRC2:TGID_Z_EN: 0
; COMPUTE_PGM_RSRC2:TIDIG_COMP_CNT: 2
; COMPUTE_PGM_RSRC3_GFX90A:ACCUM_OFFSET: 18
; COMPUTE_PGM_RSRC3_GFX90A:TG_SPLIT: 0
	.text
	.p2alignl 6, 3212836864
	.fill 256, 4, 3212836864
	.type	__hip_cuid_c0307df225900870,@object ; @__hip_cuid_c0307df225900870
	.section	.bss,"aw",@nobits
	.globl	__hip_cuid_c0307df225900870
__hip_cuid_c0307df225900870:
	.byte	0                               ; 0x0
	.size	__hip_cuid_c0307df225900870, 1

	.ident	"AMD clang version 19.0.0git (https://github.com/RadeonOpenCompute/llvm-project roc-6.4.0 25133 c7fe45cf4b819c5991fe208aaa96edf142730f1d)"
	.section	".note.GNU-stack","",@progbits
	.addrsig
	.addrsig_sym __hip_cuid_c0307df225900870
	.amdgpu_metadata
---
amdhsa.kernels:
  - .agpr_count:     0
    .args:
      - .address_space:  global
        .offset:         0
        .size:           8
        .value_kind:     global_buffer
      - .address_space:  global
        .offset:         8
        .size:           8
        .value_kind:     global_buffer
      - .address_space:  global
        .offset:         16
        .size:           8
        .value_kind:     global_buffer
    .group_segment_fixed_size: 1168
    .kernarg_segment_align: 8
    .kernarg_segment_size: 24
    .language:       OpenCL C
    .language_version:
      - 2
      - 0
    .max_flat_workgroup_size: 64
    .name:           _ZN8rajaperf4apps8Mass3DEAILm64EEEvPdS2_S2_
    .private_segment_fixed_size: 0
    .sgpr_count:     29
    .sgpr_spill_count: 0
    .symbol:         _ZN8rajaperf4apps8Mass3DEAILm64EEEvPdS2_S2_.kd
    .uniform_work_group_size: 1
    .uses_dynamic_stack: false
    .vgpr_count:     171
    .vgpr_spill_count: 0
    .wavefront_size: 64
  - .agpr_count:     256
    .args:
      - .offset:         0
        .size:           32
        .value_kind:     by_value
      - .offset:         32
        .size:           1
        .value_kind:     by_value
    .group_segment_fixed_size: 1168
    .kernarg_segment_align: 8
    .kernarg_segment_size: 36
    .language:       OpenCL C
    .language_version:
      - 2
      - 0
    .max_flat_workgroup_size: 64
    .name:           _ZN4RAJA34launch_new_reduce_global_fcn_fixedIZN8rajaperf4apps8MASS3DEA17runHipVariantImplILm64ELm0EEEvNS1_9VariantIDEEUlNS_14LaunchContextTINS_3hip33LaunchContextIndicesAndDimsPolicyINS7_14IndicesAndDimsILb0ELb0ELb0ELb0EEEEEEEE_Li64ENS_4expt15ForallParamPackIJEEEEEvT_T1_
    .private_segment_fixed_size: 3256
    .sgpr_count:     28
    .sgpr_spill_count: 0
    .symbol:         _ZN4RAJA34launch_new_reduce_global_fcn_fixedIZN8rajaperf4apps8MASS3DEA17runHipVariantImplILm64ELm0EEEvNS1_9VariantIDEEUlNS_14LaunchContextTINS_3hip33LaunchContextIndicesAndDimsPolicyINS7_14IndicesAndDimsILb0ELb0ELb0ELb0EEEEEEEE_Li64ENS_4expt15ForallParamPackIJEEEEEvT_T1_.kd
    .uniform_work_group_size: 1
    .uses_dynamic_stack: false
    .vgpr_count:     512
    .vgpr_spill_count: 999
    .wavefront_size: 64
  - .agpr_count:     0
    .args:
      - .offset:         0
        .size:           32
        .value_kind:     by_value
      - .offset:         32
        .size:           1
        .value_kind:     by_value
      - .offset:         40
        .size:           4
        .value_kind:     hidden_block_count_x
      - .offset:         44
        .size:           4
        .value_kind:     hidden_block_count_y
      - .offset:         48
        .size:           4
        .value_kind:     hidden_block_count_z
      - .offset:         52
        .size:           2
        .value_kind:     hidden_group_size_x
      - .offset:         54
        .size:           2
        .value_kind:     hidden_group_size_y
      - .offset:         56
        .size:           2
        .value_kind:     hidden_group_size_z
      - .offset:         58
        .size:           2
        .value_kind:     hidden_remainder_x
      - .offset:         60
        .size:           2
        .value_kind:     hidden_remainder_y
      - .offset:         62
        .size:           2
        .value_kind:     hidden_remainder_z
      - .offset:         80
        .size:           8
        .value_kind:     hidden_global_offset_x
      - .offset:         88
        .size:           8
        .value_kind:     hidden_global_offset_y
      - .offset:         96
        .size:           8
        .value_kind:     hidden_global_offset_z
      - .offset:         104
        .size:           2
        .value_kind:     hidden_grid_dims
    .group_segment_fixed_size: 1168
    .kernarg_segment_align: 8
    .kernarg_segment_size: 296
    .language:       OpenCL C
    .language_version:
      - 2
      - 0
    .max_flat_workgroup_size: 64
    .name:           _ZN4RAJA34launch_new_reduce_global_fcn_fixedIZN8rajaperf4apps8MASS3DEA17runHipVariantImplILm64ELm1EEEvNS1_9VariantIDEEUlNS_14LaunchContextTINS_3hip33LaunchContextIndicesAndDimsPolicyINS7_14IndicesAndDimsILb0ELb0ELb1ELb0EEEEEEEE_Li64ENS_4expt15ForallParamPackIJEEEEEvT_T1_
    .private_segment_fixed_size: 0
    .sgpr_count:     40
    .sgpr_spill_count: 0
    .symbol:         _ZN4RAJA34launch_new_reduce_global_fcn_fixedIZN8rajaperf4apps8MASS3DEA17runHipVariantImplILm64ELm1EEEvNS1_9VariantIDEEUlNS_14LaunchContextTINS_3hip33LaunchContextIndicesAndDimsPolicyINS7_14IndicesAndDimsILb0ELb0ELb1ELb0EEEEEEEE_Li64ENS_4expt15ForallParamPackIJEEEEEvT_T1_.kd
    .uniform_work_group_size: 1
    .uses_dynamic_stack: false
    .vgpr_count:     75
    .vgpr_spill_count: 0
    .wavefront_size: 64
amdhsa.target:   amdgcn-amd-amdhsa--gfx90a
amdhsa.version:
  - 1
  - 2
...

	.end_amdgpu_metadata
